;; amdgpu-corpus repo=ROCm/rocSOLVER kind=compiled arch=gfx906 opt=O3
	.amdgcn_target "amdgcn-amd-amdhsa--gfx906"
	.amdhsa_code_object_version 6
	.section	.text._ZN9rocsolver6v33100L6iota_nIfEEvPT_jS2_,"axG",@progbits,_ZN9rocsolver6v33100L6iota_nIfEEvPT_jS2_,comdat
	.globl	_ZN9rocsolver6v33100L6iota_nIfEEvPT_jS2_ ; -- Begin function _ZN9rocsolver6v33100L6iota_nIfEEvPT_jS2_
	.p2align	8
	.type	_ZN9rocsolver6v33100L6iota_nIfEEvPT_jS2_,@function
_ZN9rocsolver6v33100L6iota_nIfEEvPT_jS2_: ; @_ZN9rocsolver6v33100L6iota_nIfEEvPT_jS2_
; %bb.0:
	s_load_dwordx2 s[0:1], s[4:5], 0x8
	s_waitcnt lgkmcnt(0)
	v_cmp_gt_u32_e32 vcc, s0, v0
	s_and_saveexec_b64 s[2:3], vcc
	s_cbranch_execz .LBB0_2
; %bb.1:
	s_load_dwordx2 s[2:3], s[4:5], 0x0
	v_lshlrev_b32_e32 v1, 2, v0
	v_cvt_f32_ubyte0_e32 v0, v0
	v_add_f32_e32 v0, s1, v0
	s_waitcnt lgkmcnt(0)
	global_store_dword v1, v0, s[2:3]
.LBB0_2:
	s_endpgm
	.section	.rodata,"a",@progbits
	.p2align	6, 0x0
	.amdhsa_kernel _ZN9rocsolver6v33100L6iota_nIfEEvPT_jS2_
		.amdhsa_group_segment_fixed_size 0
		.amdhsa_private_segment_fixed_size 0
		.amdhsa_kernarg_size 16
		.amdhsa_user_sgpr_count 6
		.amdhsa_user_sgpr_private_segment_buffer 1
		.amdhsa_user_sgpr_dispatch_ptr 0
		.amdhsa_user_sgpr_queue_ptr 0
		.amdhsa_user_sgpr_kernarg_segment_ptr 1
		.amdhsa_user_sgpr_dispatch_id 0
		.amdhsa_user_sgpr_flat_scratch_init 0
		.amdhsa_user_sgpr_private_segment_size 0
		.amdhsa_uses_dynamic_stack 0
		.amdhsa_system_sgpr_private_segment_wavefront_offset 0
		.amdhsa_system_sgpr_workgroup_id_x 1
		.amdhsa_system_sgpr_workgroup_id_y 0
		.amdhsa_system_sgpr_workgroup_id_z 0
		.amdhsa_system_sgpr_workgroup_info 0
		.amdhsa_system_vgpr_workitem_id 0
		.amdhsa_next_free_vgpr 2
		.amdhsa_next_free_sgpr 6
		.amdhsa_reserve_vcc 1
		.amdhsa_reserve_flat_scratch 0
		.amdhsa_float_round_mode_32 0
		.amdhsa_float_round_mode_16_64 0
		.amdhsa_float_denorm_mode_32 3
		.amdhsa_float_denorm_mode_16_64 3
		.amdhsa_dx10_clamp 1
		.amdhsa_ieee_mode 1
		.amdhsa_fp16_overflow 0
		.amdhsa_exception_fp_ieee_invalid_op 0
		.amdhsa_exception_fp_denorm_src 0
		.amdhsa_exception_fp_ieee_div_zero 0
		.amdhsa_exception_fp_ieee_overflow 0
		.amdhsa_exception_fp_ieee_underflow 0
		.amdhsa_exception_fp_ieee_inexact 0
		.amdhsa_exception_int_div_zero 0
	.end_amdhsa_kernel
	.section	.text._ZN9rocsolver6v33100L6iota_nIfEEvPT_jS2_,"axG",@progbits,_ZN9rocsolver6v33100L6iota_nIfEEvPT_jS2_,comdat
.Lfunc_end0:
	.size	_ZN9rocsolver6v33100L6iota_nIfEEvPT_jS2_, .Lfunc_end0-_ZN9rocsolver6v33100L6iota_nIfEEvPT_jS2_
                                        ; -- End function
	.set _ZN9rocsolver6v33100L6iota_nIfEEvPT_jS2_.num_vgpr, 2
	.set _ZN9rocsolver6v33100L6iota_nIfEEvPT_jS2_.num_agpr, 0
	.set _ZN9rocsolver6v33100L6iota_nIfEEvPT_jS2_.numbered_sgpr, 6
	.set _ZN9rocsolver6v33100L6iota_nIfEEvPT_jS2_.num_named_barrier, 0
	.set _ZN9rocsolver6v33100L6iota_nIfEEvPT_jS2_.private_seg_size, 0
	.set _ZN9rocsolver6v33100L6iota_nIfEEvPT_jS2_.uses_vcc, 1
	.set _ZN9rocsolver6v33100L6iota_nIfEEvPT_jS2_.uses_flat_scratch, 0
	.set _ZN9rocsolver6v33100L6iota_nIfEEvPT_jS2_.has_dyn_sized_stack, 0
	.set _ZN9rocsolver6v33100L6iota_nIfEEvPT_jS2_.has_recursion, 0
	.set _ZN9rocsolver6v33100L6iota_nIfEEvPT_jS2_.has_indirect_call, 0
	.section	.AMDGPU.csdata,"",@progbits
; Kernel info:
; codeLenInByte = 60
; TotalNumSgprs: 10
; NumVgprs: 2
; ScratchSize: 0
; MemoryBound: 0
; FloatMode: 240
; IeeeMode: 1
; LDSByteSize: 0 bytes/workgroup (compile time only)
; SGPRBlocks: 1
; VGPRBlocks: 0
; NumSGPRsForWavesPerEU: 10
; NumVGPRsForWavesPerEU: 2
; Occupancy: 10
; WaveLimiterHint : 0
; COMPUTE_PGM_RSRC2:SCRATCH_EN: 0
; COMPUTE_PGM_RSRC2:USER_SGPR: 6
; COMPUTE_PGM_RSRC2:TRAP_HANDLER: 0
; COMPUTE_PGM_RSRC2:TGID_X_EN: 1
; COMPUTE_PGM_RSRC2:TGID_Y_EN: 0
; COMPUTE_PGM_RSRC2:TGID_Z_EN: 0
; COMPUTE_PGM_RSRC2:TIDIG_COMP_CNT: 0
	.section	.text._ZN9rocsolver6v33100L13conj_in_placeIfiPKPfTnNSt9enable_ifIXnt18rocblas_is_complexIT_EEiE4typeELi0EEEvT0_S9_T1_lS9_l,"axG",@progbits,_ZN9rocsolver6v33100L13conj_in_placeIfiPKPfTnNSt9enable_ifIXnt18rocblas_is_complexIT_EEiE4typeELi0EEEvT0_S9_T1_lS9_l,comdat
	.globl	_ZN9rocsolver6v33100L13conj_in_placeIfiPKPfTnNSt9enable_ifIXnt18rocblas_is_complexIT_EEiE4typeELi0EEEvT0_S9_T1_lS9_l ; -- Begin function _ZN9rocsolver6v33100L13conj_in_placeIfiPKPfTnNSt9enable_ifIXnt18rocblas_is_complexIT_EEiE4typeELi0EEEvT0_S9_T1_lS9_l
	.p2align	8
	.type	_ZN9rocsolver6v33100L13conj_in_placeIfiPKPfTnNSt9enable_ifIXnt18rocblas_is_complexIT_EEiE4typeELi0EEEvT0_S9_T1_lS9_l,@function
_ZN9rocsolver6v33100L13conj_in_placeIfiPKPfTnNSt9enable_ifIXnt18rocblas_is_complexIT_EEiE4typeELi0EEEvT0_S9_T1_lS9_l: ; @_ZN9rocsolver6v33100L13conj_in_placeIfiPKPfTnNSt9enable_ifIXnt18rocblas_is_complexIT_EEiE4typeELi0EEEvT0_S9_T1_lS9_l
; %bb.0:
	s_endpgm
	.section	.rodata,"a",@progbits
	.p2align	6, 0x0
	.amdhsa_kernel _ZN9rocsolver6v33100L13conj_in_placeIfiPKPfTnNSt9enable_ifIXnt18rocblas_is_complexIT_EEiE4typeELi0EEEvT0_S9_T1_lS9_l
		.amdhsa_group_segment_fixed_size 0
		.amdhsa_private_segment_fixed_size 0
		.amdhsa_kernarg_size 40
		.amdhsa_user_sgpr_count 6
		.amdhsa_user_sgpr_private_segment_buffer 1
		.amdhsa_user_sgpr_dispatch_ptr 0
		.amdhsa_user_sgpr_queue_ptr 0
		.amdhsa_user_sgpr_kernarg_segment_ptr 1
		.amdhsa_user_sgpr_dispatch_id 0
		.amdhsa_user_sgpr_flat_scratch_init 0
		.amdhsa_user_sgpr_private_segment_size 0
		.amdhsa_uses_dynamic_stack 0
		.amdhsa_system_sgpr_private_segment_wavefront_offset 0
		.amdhsa_system_sgpr_workgroup_id_x 1
		.amdhsa_system_sgpr_workgroup_id_y 0
		.amdhsa_system_sgpr_workgroup_id_z 0
		.amdhsa_system_sgpr_workgroup_info 0
		.amdhsa_system_vgpr_workitem_id 0
		.amdhsa_next_free_vgpr 1
		.amdhsa_next_free_sgpr 0
		.amdhsa_reserve_vcc 0
		.amdhsa_reserve_flat_scratch 0
		.amdhsa_float_round_mode_32 0
		.amdhsa_float_round_mode_16_64 0
		.amdhsa_float_denorm_mode_32 3
		.amdhsa_float_denorm_mode_16_64 3
		.amdhsa_dx10_clamp 1
		.amdhsa_ieee_mode 1
		.amdhsa_fp16_overflow 0
		.amdhsa_exception_fp_ieee_invalid_op 0
		.amdhsa_exception_fp_denorm_src 0
		.amdhsa_exception_fp_ieee_div_zero 0
		.amdhsa_exception_fp_ieee_overflow 0
		.amdhsa_exception_fp_ieee_underflow 0
		.amdhsa_exception_fp_ieee_inexact 0
		.amdhsa_exception_int_div_zero 0
	.end_amdhsa_kernel
	.section	.text._ZN9rocsolver6v33100L13conj_in_placeIfiPKPfTnNSt9enable_ifIXnt18rocblas_is_complexIT_EEiE4typeELi0EEEvT0_S9_T1_lS9_l,"axG",@progbits,_ZN9rocsolver6v33100L13conj_in_placeIfiPKPfTnNSt9enable_ifIXnt18rocblas_is_complexIT_EEiE4typeELi0EEEvT0_S9_T1_lS9_l,comdat
.Lfunc_end1:
	.size	_ZN9rocsolver6v33100L13conj_in_placeIfiPKPfTnNSt9enable_ifIXnt18rocblas_is_complexIT_EEiE4typeELi0EEEvT0_S9_T1_lS9_l, .Lfunc_end1-_ZN9rocsolver6v33100L13conj_in_placeIfiPKPfTnNSt9enable_ifIXnt18rocblas_is_complexIT_EEiE4typeELi0EEEvT0_S9_T1_lS9_l
                                        ; -- End function
	.set _ZN9rocsolver6v33100L13conj_in_placeIfiPKPfTnNSt9enable_ifIXnt18rocblas_is_complexIT_EEiE4typeELi0EEEvT0_S9_T1_lS9_l.num_vgpr, 0
	.set _ZN9rocsolver6v33100L13conj_in_placeIfiPKPfTnNSt9enable_ifIXnt18rocblas_is_complexIT_EEiE4typeELi0EEEvT0_S9_T1_lS9_l.num_agpr, 0
	.set _ZN9rocsolver6v33100L13conj_in_placeIfiPKPfTnNSt9enable_ifIXnt18rocblas_is_complexIT_EEiE4typeELi0EEEvT0_S9_T1_lS9_l.numbered_sgpr, 0
	.set _ZN9rocsolver6v33100L13conj_in_placeIfiPKPfTnNSt9enable_ifIXnt18rocblas_is_complexIT_EEiE4typeELi0EEEvT0_S9_T1_lS9_l.num_named_barrier, 0
	.set _ZN9rocsolver6v33100L13conj_in_placeIfiPKPfTnNSt9enable_ifIXnt18rocblas_is_complexIT_EEiE4typeELi0EEEvT0_S9_T1_lS9_l.private_seg_size, 0
	.set _ZN9rocsolver6v33100L13conj_in_placeIfiPKPfTnNSt9enable_ifIXnt18rocblas_is_complexIT_EEiE4typeELi0EEEvT0_S9_T1_lS9_l.uses_vcc, 0
	.set _ZN9rocsolver6v33100L13conj_in_placeIfiPKPfTnNSt9enable_ifIXnt18rocblas_is_complexIT_EEiE4typeELi0EEEvT0_S9_T1_lS9_l.uses_flat_scratch, 0
	.set _ZN9rocsolver6v33100L13conj_in_placeIfiPKPfTnNSt9enable_ifIXnt18rocblas_is_complexIT_EEiE4typeELi0EEEvT0_S9_T1_lS9_l.has_dyn_sized_stack, 0
	.set _ZN9rocsolver6v33100L13conj_in_placeIfiPKPfTnNSt9enable_ifIXnt18rocblas_is_complexIT_EEiE4typeELi0EEEvT0_S9_T1_lS9_l.has_recursion, 0
	.set _ZN9rocsolver6v33100L13conj_in_placeIfiPKPfTnNSt9enable_ifIXnt18rocblas_is_complexIT_EEiE4typeELi0EEEvT0_S9_T1_lS9_l.has_indirect_call, 0
	.section	.AMDGPU.csdata,"",@progbits
; Kernel info:
; codeLenInByte = 4
; TotalNumSgprs: 4
; NumVgprs: 0
; ScratchSize: 0
; MemoryBound: 0
; FloatMode: 240
; IeeeMode: 1
; LDSByteSize: 0 bytes/workgroup (compile time only)
; SGPRBlocks: 0
; VGPRBlocks: 0
; NumSGPRsForWavesPerEU: 4
; NumVGPRsForWavesPerEU: 1
; Occupancy: 10
; WaveLimiterHint : 0
; COMPUTE_PGM_RSRC2:SCRATCH_EN: 0
; COMPUTE_PGM_RSRC2:USER_SGPR: 6
; COMPUTE_PGM_RSRC2:TRAP_HANDLER: 0
; COMPUTE_PGM_RSRC2:TGID_X_EN: 1
; COMPUTE_PGM_RSRC2:TGID_Y_EN: 0
; COMPUTE_PGM_RSRC2:TGID_Z_EN: 0
; COMPUTE_PGM_RSRC2:TIDIG_COMP_CNT: 0
	.section	.text._ZN9rocsolver6v33100L16reset_batch_infoIfiiPfEEvT2_lT0_T1_,"axG",@progbits,_ZN9rocsolver6v33100L16reset_batch_infoIfiiPfEEvT2_lT0_T1_,comdat
	.globl	_ZN9rocsolver6v33100L16reset_batch_infoIfiiPfEEvT2_lT0_T1_ ; -- Begin function _ZN9rocsolver6v33100L16reset_batch_infoIfiiPfEEvT2_lT0_T1_
	.p2align	8
	.type	_ZN9rocsolver6v33100L16reset_batch_infoIfiiPfEEvT2_lT0_T1_,@function
_ZN9rocsolver6v33100L16reset_batch_infoIfiiPfEEvT2_lT0_T1_: ; @_ZN9rocsolver6v33100L16reset_batch_infoIfiiPfEEvT2_lT0_T1_
; %bb.0:
	s_load_dword s2, s[4:5], 0x24
	s_load_dwordx2 s[0:1], s[4:5], 0x10
	s_waitcnt lgkmcnt(0)
	s_and_b32 s2, s2, 0xffff
	s_mul_i32 s6, s6, s2
	v_add_u32_e32 v0, s6, v0
	v_cmp_gt_i32_e32 vcc, s0, v0
	s_and_saveexec_b64 s[2:3], vcc
	s_cbranch_execz .LBB2_2
; %bb.1:
	s_load_dwordx4 s[8:11], s[4:5], 0x0
	s_ashr_i32 s0, s7, 31
	v_ashrrev_i32_e32 v1, 31, v0
	v_lshlrev_b64 v[0:1], 2, v[0:1]
	v_cvt_f32_i32_e32 v3, s1
	s_waitcnt lgkmcnt(0)
	s_mul_hi_u32 s3, s10, s7
	s_mul_i32 s0, s10, s0
	s_mul_i32 s4, s11, s7
	s_add_i32 s0, s3, s0
	s_mul_i32 s2, s10, s7
	s_add_i32 s3, s0, s4
	s_lshl_b64 s[2:3], s[2:3], 2
	s_add_u32 s0, s8, s2
	s_addc_u32 s2, s9, s3
	v_mov_b32_e32 v2, s2
	v_add_co_u32_e32 v0, vcc, s0, v0
	v_addc_co_u32_e32 v1, vcc, v2, v1, vcc
	global_store_dword v[0:1], v3, off
.LBB2_2:
	s_endpgm
	.section	.rodata,"a",@progbits
	.p2align	6, 0x0
	.amdhsa_kernel _ZN9rocsolver6v33100L16reset_batch_infoIfiiPfEEvT2_lT0_T1_
		.amdhsa_group_segment_fixed_size 0
		.amdhsa_private_segment_fixed_size 0
		.amdhsa_kernarg_size 280
		.amdhsa_user_sgpr_count 6
		.amdhsa_user_sgpr_private_segment_buffer 1
		.amdhsa_user_sgpr_dispatch_ptr 0
		.amdhsa_user_sgpr_queue_ptr 0
		.amdhsa_user_sgpr_kernarg_segment_ptr 1
		.amdhsa_user_sgpr_dispatch_id 0
		.amdhsa_user_sgpr_flat_scratch_init 0
		.amdhsa_user_sgpr_private_segment_size 0
		.amdhsa_uses_dynamic_stack 0
		.amdhsa_system_sgpr_private_segment_wavefront_offset 0
		.amdhsa_system_sgpr_workgroup_id_x 1
		.amdhsa_system_sgpr_workgroup_id_y 1
		.amdhsa_system_sgpr_workgroup_id_z 0
		.amdhsa_system_sgpr_workgroup_info 0
		.amdhsa_system_vgpr_workitem_id 0
		.amdhsa_next_free_vgpr 4
		.amdhsa_next_free_sgpr 12
		.amdhsa_reserve_vcc 1
		.amdhsa_reserve_flat_scratch 0
		.amdhsa_float_round_mode_32 0
		.amdhsa_float_round_mode_16_64 0
		.amdhsa_float_denorm_mode_32 3
		.amdhsa_float_denorm_mode_16_64 3
		.amdhsa_dx10_clamp 1
		.amdhsa_ieee_mode 1
		.amdhsa_fp16_overflow 0
		.amdhsa_exception_fp_ieee_invalid_op 0
		.amdhsa_exception_fp_denorm_src 0
		.amdhsa_exception_fp_ieee_div_zero 0
		.amdhsa_exception_fp_ieee_overflow 0
		.amdhsa_exception_fp_ieee_underflow 0
		.amdhsa_exception_fp_ieee_inexact 0
		.amdhsa_exception_int_div_zero 0
	.end_amdhsa_kernel
	.section	.text._ZN9rocsolver6v33100L16reset_batch_infoIfiiPfEEvT2_lT0_T1_,"axG",@progbits,_ZN9rocsolver6v33100L16reset_batch_infoIfiiPfEEvT2_lT0_T1_,comdat
.Lfunc_end2:
	.size	_ZN9rocsolver6v33100L16reset_batch_infoIfiiPfEEvT2_lT0_T1_, .Lfunc_end2-_ZN9rocsolver6v33100L16reset_batch_infoIfiiPfEEvT2_lT0_T1_
                                        ; -- End function
	.set _ZN9rocsolver6v33100L16reset_batch_infoIfiiPfEEvT2_lT0_T1_.num_vgpr, 4
	.set _ZN9rocsolver6v33100L16reset_batch_infoIfiiPfEEvT2_lT0_T1_.num_agpr, 0
	.set _ZN9rocsolver6v33100L16reset_batch_infoIfiiPfEEvT2_lT0_T1_.numbered_sgpr, 12
	.set _ZN9rocsolver6v33100L16reset_batch_infoIfiiPfEEvT2_lT0_T1_.num_named_barrier, 0
	.set _ZN9rocsolver6v33100L16reset_batch_infoIfiiPfEEvT2_lT0_T1_.private_seg_size, 0
	.set _ZN9rocsolver6v33100L16reset_batch_infoIfiiPfEEvT2_lT0_T1_.uses_vcc, 1
	.set _ZN9rocsolver6v33100L16reset_batch_infoIfiiPfEEvT2_lT0_T1_.uses_flat_scratch, 0
	.set _ZN9rocsolver6v33100L16reset_batch_infoIfiiPfEEvT2_lT0_T1_.has_dyn_sized_stack, 0
	.set _ZN9rocsolver6v33100L16reset_batch_infoIfiiPfEEvT2_lT0_T1_.has_recursion, 0
	.set _ZN9rocsolver6v33100L16reset_batch_infoIfiiPfEEvT2_lT0_T1_.has_indirect_call, 0
	.section	.AMDGPU.csdata,"",@progbits
; Kernel info:
; codeLenInByte = 140
; TotalNumSgprs: 16
; NumVgprs: 4
; ScratchSize: 0
; MemoryBound: 0
; FloatMode: 240
; IeeeMode: 1
; LDSByteSize: 0 bytes/workgroup (compile time only)
; SGPRBlocks: 1
; VGPRBlocks: 0
; NumSGPRsForWavesPerEU: 16
; NumVGPRsForWavesPerEU: 4
; Occupancy: 10
; WaveLimiterHint : 0
; COMPUTE_PGM_RSRC2:SCRATCH_EN: 0
; COMPUTE_PGM_RSRC2:USER_SGPR: 6
; COMPUTE_PGM_RSRC2:TRAP_HANDLER: 0
; COMPUTE_PGM_RSRC2:TGID_X_EN: 1
; COMPUTE_PGM_RSRC2:TGID_Y_EN: 1
; COMPUTE_PGM_RSRC2:TGID_Z_EN: 0
; COMPUTE_PGM_RSRC2:TIDIG_COMP_CNT: 0
	.section	.text._ZN9rocsolver6v33100L11set_taubetaIfifPKPfEEvPT_lS6_T2_llPT1_ll,"axG",@progbits,_ZN9rocsolver6v33100L11set_taubetaIfifPKPfEEvPT_lS6_T2_llPT1_ll,comdat
	.globl	_ZN9rocsolver6v33100L11set_taubetaIfifPKPfEEvPT_lS6_T2_llPT1_ll ; -- Begin function _ZN9rocsolver6v33100L11set_taubetaIfifPKPfEEvPT_lS6_T2_llPT1_ll
	.p2align	8
	.type	_ZN9rocsolver6v33100L11set_taubetaIfifPKPfEEvPT_lS6_T2_llPT1_ll,@function
_ZN9rocsolver6v33100L11set_taubetaIfifPKPfEEvPT_lS6_T2_llPT1_ll: ; @_ZN9rocsolver6v33100L11set_taubetaIfifPKPfEEvPT_lS6_T2_llPT1_ll
; %bb.0:
	s_load_dwordx8 s[8:15], s[4:5], 0x0
	s_load_dwordx2 s[18:19], s[4:5], 0x20
	s_load_dwordx4 s[0:3], s[4:5], 0x30
	s_ashr_i32 s7, s6, 31
	s_lshl_b64 s[16:17], s[6:7], 3
	s_waitcnt lgkmcnt(0)
	s_add_u32 s14, s14, s16
	s_addc_u32 s15, s15, s17
	s_load_dwordx2 s[20:21], s[14:15], 0x0
	s_mov_b64 s[16:17], 0
	s_cmp_eq_u64 s[0:1], 0
	s_mov_b64 s[14:15], 0
	s_cbranch_scc1 .LBB3_2
; %bb.1:
	s_load_dwordx2 s[4:5], s[4:5], 0x40
	s_waitcnt lgkmcnt(0)
	s_mul_i32 s14, s4, s7
	s_mul_hi_u32 s15, s4, s6
	s_mul_i32 s5, s5, s6
	s_add_i32 s14, s15, s14
	s_mul_i32 s4, s4, s6
	s_add_i32 s5, s14, s5
	s_lshl_b64 s[4:5], s[4:5], 2
	s_add_u32 s4, s0, s4
	s_addc_u32 s5, s1, s5
	s_lshl_b64 s[0:1], s[2:3], 2
	s_add_u32 s14, s4, s0
	s_addc_u32 s15, s5, s1
.LBB3_2:
	s_lshl_b64 s[0:1], s[18:19], 2
	s_waitcnt lgkmcnt(0)
	s_add_u32 s2, s20, s0
	s_addc_u32 s3, s21, s1
	s_mul_i32 s0, s10, s7
	s_mul_hi_u32 s1, s10, s6
	s_add_i32 s0, s1, s0
	s_mul_i32 s1, s11, s6
	s_add_i32 s1, s0, s1
	s_mul_i32 s0, s10, s6
	s_lshl_b64 s[0:1], s[0:1], 2
	s_add_u32 s8, s8, s0
	s_addc_u32 s9, s9, s1
	s_lshl_b64 s[0:1], s[6:7], 2
	s_add_u32 s10, s12, s0
	s_addc_u32 s11, s13, s1
	s_load_dword s12, s[10:11], 0x0
	s_cmp_eq_u64 s[14:15], 0
	s_cselect_b64 s[4:5], -1, 0
	s_cmp_lg_u64 s[14:15], 0
	s_cselect_b64 s[6:7], -1, 0
	s_waitcnt lgkmcnt(0)
	v_cmp_ngt_f32_e64 s[0:1], s12, 0
	s_and_b64 vcc, exec, s[0:1]
	s_cbranch_vccz .LBB3_7
; %bb.3:
	v_mov_b32_e32 v0, 1.0
	v_mov_b32_e32 v1, 0
	s_mov_b64 s[0:1], 0
	s_and_b64 vcc, exec, s[6:7]
	global_store_dword v1, v0, s[10:11]
	global_store_dword v1, v1, s[8:9]
                                        ; implicit-def: $vgpr0
	s_cbranch_vccz .LBB3_5
; %bb.4:
	v_mov_b32_e32 v0, s2
	v_mov_b32_e32 v1, s3
	flat_load_dword v0, v[0:1]
	s_mov_b64 s[16:17], -1
.LBB3_5:
	s_and_b64 vcc, exec, s[0:1]
	s_cbranch_vccz .LBB3_8
.LBB3_6:
	v_mov_b32_e32 v1, s2
	v_mov_b32_e32 v2, s3
	flat_load_dword v3, v[1:2]
	s_mov_b32 s0, 0xf800000
	v_mov_b32_e32 v5, 0x260
	s_mov_b64 s[16:17], s[6:7]
	s_waitcnt vmcnt(0) lgkmcnt(0)
	v_fma_f32 v0, v3, v3, s12
	v_mul_f32_e32 v4, 0x4f800000, v0
	v_cmp_gt_f32_e32 vcc, s0, v0
	v_cndmask_b32_e32 v0, v0, v4, vcc
	v_sqrt_f32_e32 v4, v0
	v_add_u32_e32 v6, -1, v4
	v_add_u32_e32 v7, 1, v4
	v_fma_f32 v8, -v6, v4, v0
	v_fma_f32 v9, -v7, v4, v0
	v_cmp_ge_f32_e64 s[0:1], 0, v8
	v_cndmask_b32_e64 v4, v4, v6, s[0:1]
	v_cmp_lt_f32_e64 s[0:1], 0, v9
	v_cndmask_b32_e64 v4, v4, v7, s[0:1]
	v_mul_f32_e32 v6, 0x37800000, v4
	v_cndmask_b32_e32 v4, v4, v6, vcc
	v_cmp_class_f32_e32 vcc, v0, v5
	v_cndmask_b32_e32 v0, v4, v0, vcc
	v_cmp_le_f32_e32 vcc, 0, v3
	v_cndmask_b32_e64 v0, v0, -v0, vcc
	v_sub_f32_e32 v3, v3, v0
	v_div_scale_f32 v4, s[0:1], v3, v3, 1.0
	v_div_scale_f32 v5, vcc, 1.0, v3, 1.0
	v_rcp_f32_e32 v6, v4
	v_fma_f32 v7, -v4, v6, 1.0
	v_fmac_f32_e32 v6, v7, v6
	v_mul_f32_e32 v7, v5, v6
	v_fma_f32 v8, -v4, v7, v5
	v_fmac_f32_e32 v7, v8, v6
	v_fma_f32 v4, -v4, v7, v5
	v_div_fmas_f32 v4, v4, v6, v7
	v_mov_b32_e32 v5, 0
	v_div_fixup_f32 v3, v4, v3, 1.0
	global_store_dword v5, v3, s[10:11]
	flat_load_dword v1, v[1:2]
	s_waitcnt vmcnt(0) lgkmcnt(0)
	v_sub_f32_e32 v1, v0, v1
	v_div_scale_f32 v2, s[0:1], v0, v0, v1
	v_div_scale_f32 v3, vcc, v1, v0, v1
	v_rcp_f32_e32 v4, v2
	v_fma_f32 v6, -v2, v4, 1.0
	v_fmac_f32_e32 v4, v6, v4
	v_mul_f32_e32 v6, v3, v4
	v_fma_f32 v7, -v2, v6, v3
	v_fmac_f32_e32 v6, v7, v4
	v_fma_f32 v2, -v2, v6, v3
	v_div_fmas_f32 v2, v2, v4, v6
	v_div_fixup_f32 v1, v2, v0, v1
	global_store_dword v5, v1, s[8:9]
	s_andn2_b64 vcc, exec, s[16:17]
	s_cbranch_vccz .LBB3_9
	s_branch .LBB3_10
.LBB3_7:
                                        ; implicit-def: $vgpr0
	s_cbranch_execnz .LBB3_6
.LBB3_8:
	s_mov_b64 s[4:5], 0
	s_andn2_b64 vcc, exec, s[16:17]
	s_cbranch_vccnz .LBB3_10
.LBB3_9:
	v_mov_b32_e32 v1, 0
	s_waitcnt vmcnt(0) lgkmcnt(0)
	global_store_dword v1, v0, s[14:15]
	s_mov_b64 s[4:5], -1
	v_mov_b32_e32 v0, 1.0
.LBB3_10:
	s_andn2_b64 vcc, exec, s[4:5]
	s_cbranch_vccz .LBB3_12
; %bb.11:
	s_endpgm
.LBB3_12:
	v_mov_b32_e32 v1, s2
	v_mov_b32_e32 v2, s3
	s_waitcnt vmcnt(0) lgkmcnt(0)
	flat_store_dword v[1:2], v0
	s_endpgm
	.section	.rodata,"a",@progbits
	.p2align	6, 0x0
	.amdhsa_kernel _ZN9rocsolver6v33100L11set_taubetaIfifPKPfEEvPT_lS6_T2_llPT1_ll
		.amdhsa_group_segment_fixed_size 0
		.amdhsa_private_segment_fixed_size 0
		.amdhsa_kernarg_size 72
		.amdhsa_user_sgpr_count 6
		.amdhsa_user_sgpr_private_segment_buffer 1
		.amdhsa_user_sgpr_dispatch_ptr 0
		.amdhsa_user_sgpr_queue_ptr 0
		.amdhsa_user_sgpr_kernarg_segment_ptr 1
		.amdhsa_user_sgpr_dispatch_id 0
		.amdhsa_user_sgpr_flat_scratch_init 0
		.amdhsa_user_sgpr_private_segment_size 0
		.amdhsa_uses_dynamic_stack 0
		.amdhsa_system_sgpr_private_segment_wavefront_offset 0
		.amdhsa_system_sgpr_workgroup_id_x 1
		.amdhsa_system_sgpr_workgroup_id_y 0
		.amdhsa_system_sgpr_workgroup_id_z 0
		.amdhsa_system_sgpr_workgroup_info 0
		.amdhsa_system_vgpr_workitem_id 0
		.amdhsa_next_free_vgpr 10
		.amdhsa_next_free_sgpr 22
		.amdhsa_reserve_vcc 1
		.amdhsa_reserve_flat_scratch 0
		.amdhsa_float_round_mode_32 0
		.amdhsa_float_round_mode_16_64 0
		.amdhsa_float_denorm_mode_32 3
		.amdhsa_float_denorm_mode_16_64 3
		.amdhsa_dx10_clamp 1
		.amdhsa_ieee_mode 1
		.amdhsa_fp16_overflow 0
		.amdhsa_exception_fp_ieee_invalid_op 0
		.amdhsa_exception_fp_denorm_src 0
		.amdhsa_exception_fp_ieee_div_zero 0
		.amdhsa_exception_fp_ieee_overflow 0
		.amdhsa_exception_fp_ieee_underflow 0
		.amdhsa_exception_fp_ieee_inexact 0
		.amdhsa_exception_int_div_zero 0
	.end_amdhsa_kernel
	.section	.text._ZN9rocsolver6v33100L11set_taubetaIfifPKPfEEvPT_lS6_T2_llPT1_ll,"axG",@progbits,_ZN9rocsolver6v33100L11set_taubetaIfifPKPfEEvPT_lS6_T2_llPT1_ll,comdat
.Lfunc_end3:
	.size	_ZN9rocsolver6v33100L11set_taubetaIfifPKPfEEvPT_lS6_T2_llPT1_ll, .Lfunc_end3-_ZN9rocsolver6v33100L11set_taubetaIfifPKPfEEvPT_lS6_T2_llPT1_ll
                                        ; -- End function
	.set _ZN9rocsolver6v33100L11set_taubetaIfifPKPfEEvPT_lS6_T2_llPT1_ll.num_vgpr, 10
	.set _ZN9rocsolver6v33100L11set_taubetaIfifPKPfEEvPT_lS6_T2_llPT1_ll.num_agpr, 0
	.set _ZN9rocsolver6v33100L11set_taubetaIfifPKPfEEvPT_lS6_T2_llPT1_ll.numbered_sgpr, 22
	.set _ZN9rocsolver6v33100L11set_taubetaIfifPKPfEEvPT_lS6_T2_llPT1_ll.num_named_barrier, 0
	.set _ZN9rocsolver6v33100L11set_taubetaIfifPKPfEEvPT_lS6_T2_llPT1_ll.private_seg_size, 0
	.set _ZN9rocsolver6v33100L11set_taubetaIfifPKPfEEvPT_lS6_T2_llPT1_ll.uses_vcc, 1
	.set _ZN9rocsolver6v33100L11set_taubetaIfifPKPfEEvPT_lS6_T2_llPT1_ll.uses_flat_scratch, 0
	.set _ZN9rocsolver6v33100L11set_taubetaIfifPKPfEEvPT_lS6_T2_llPT1_ll.has_dyn_sized_stack, 0
	.set _ZN9rocsolver6v33100L11set_taubetaIfifPKPfEEvPT_lS6_T2_llPT1_ll.has_recursion, 0
	.set _ZN9rocsolver6v33100L11set_taubetaIfifPKPfEEvPT_lS6_T2_llPT1_ll.has_indirect_call, 0
	.section	.AMDGPU.csdata,"",@progbits
; Kernel info:
; codeLenInByte = 728
; TotalNumSgprs: 26
; NumVgprs: 10
; ScratchSize: 0
; MemoryBound: 0
; FloatMode: 240
; IeeeMode: 1
; LDSByteSize: 0 bytes/workgroup (compile time only)
; SGPRBlocks: 3
; VGPRBlocks: 2
; NumSGPRsForWavesPerEU: 26
; NumVGPRsForWavesPerEU: 10
; Occupancy: 10
; WaveLimiterHint : 1
; COMPUTE_PGM_RSRC2:SCRATCH_EN: 0
; COMPUTE_PGM_RSRC2:USER_SGPR: 6
; COMPUTE_PGM_RSRC2:TRAP_HANDLER: 0
; COMPUTE_PGM_RSRC2:TGID_X_EN: 1
; COMPUTE_PGM_RSRC2:TGID_Y_EN: 0
; COMPUTE_PGM_RSRC2:TGID_Z_EN: 0
; COMPUTE_PGM_RSRC2:TIDIG_COMP_CNT: 0
	.section	.text._ZN9rocsolver6v33100L8set_diagIfifPKPfTnNSt9enable_ifIXoont18rocblas_is_complexIT_E18rocblas_is_complexIT1_EEiE4typeELi0EEEvPS7_llT2_lT0_lSC_b,"axG",@progbits,_ZN9rocsolver6v33100L8set_diagIfifPKPfTnNSt9enable_ifIXoont18rocblas_is_complexIT_E18rocblas_is_complexIT1_EEiE4typeELi0EEEvPS7_llT2_lT0_lSC_b,comdat
	.globl	_ZN9rocsolver6v33100L8set_diagIfifPKPfTnNSt9enable_ifIXoont18rocblas_is_complexIT_E18rocblas_is_complexIT1_EEiE4typeELi0EEEvPS7_llT2_lT0_lSC_b ; -- Begin function _ZN9rocsolver6v33100L8set_diagIfifPKPfTnNSt9enable_ifIXoont18rocblas_is_complexIT_E18rocblas_is_complexIT1_EEiE4typeELi0EEEvPS7_llT2_lT0_lSC_b
	.p2align	8
	.type	_ZN9rocsolver6v33100L8set_diagIfifPKPfTnNSt9enable_ifIXoont18rocblas_is_complexIT_E18rocblas_is_complexIT1_EEiE4typeELi0EEEvPS7_llT2_lT0_lSC_b,@function
_ZN9rocsolver6v33100L8set_diagIfifPKPfTnNSt9enable_ifIXoont18rocblas_is_complexIT_E18rocblas_is_complexIT1_EEiE4typeELi0EEEvPS7_llT2_lT0_lSC_b: ; @_ZN9rocsolver6v33100L8set_diagIfifPKPfTnNSt9enable_ifIXoont18rocblas_is_complexIT_E18rocblas_is_complexIT1_EEiE4typeELi0EEEvPS7_llT2_lT0_lSC_b
; %bb.0:
	s_load_dword s2, s[4:5], 0x4c
	s_load_dwordx2 s[0:1], s[4:5], 0x38
	s_waitcnt lgkmcnt(0)
	s_lshr_b32 s2, s2, 16
	s_mul_i32 s7, s7, s2
	v_add_u32_e32 v0, s7, v1
	v_cmp_gt_i32_e32 vcc, s0, v0
	s_and_saveexec_b64 s[2:3], vcc
	s_cbranch_execz .LBB4_2
; %bb.1:
	s_load_dwordx8 s[8:15], s[4:5], 0x0
	s_load_dwordx2 s[2:3], s[4:5], 0x20
	s_load_dword s16, s[4:5], 0x28
	s_bitcmp1_b32 s1, 0
	s_cselect_b64 s[0:1], -1, 0
	s_ashr_i32 s7, s6, 31
	s_lshl_b64 s[4:5], s[6:7], 3
	s_waitcnt lgkmcnt(0)
	s_add_u32 s4, s14, s4
	s_addc_u32 s5, s15, s5
	s_load_dwordx2 s[4:5], s[4:5], 0x0
	v_mad_u64_u32 v[1:2], s[14:15], v0, s16, v[0:1]
	s_lshl_b64 s[2:3], s[2:3], 2
	v_ashrrev_i32_e32 v2, 31, v1
	s_waitcnt lgkmcnt(0)
	s_add_u32 s2, s4, s2
	v_lshlrev_b64 v[1:2], 2, v[1:2]
	s_addc_u32 s3, s5, s3
	v_mov_b32_e32 v4, s3
	v_add_co_u32_e32 v3, vcc, s2, v1
	v_addc_co_u32_e32 v4, vcc, v4, v2, vcc
	flat_load_dword v2, v[3:4]
	s_mul_hi_u32 s3, s12, s6
	s_mul_i32 s4, s12, s7
	s_mul_i32 s5, s13, s6
	s_add_i32 s3, s3, s4
	s_mul_i32 s2, s12, s6
	s_add_i32 s3, s3, s5
	s_lshl_b64 s[2:3], s[2:3], 2
	s_add_u32 s4, s8, s2
	v_ashrrev_i32_e32 v1, 31, v0
	s_addc_u32 s5, s9, s3
	s_lshl_b64 s[2:3], s[10:11], 2
	v_lshlrev_b64 v[0:1], 2, v[0:1]
	s_add_u32 s2, s4, s2
	s_addc_u32 s3, s5, s3
	v_mov_b32_e32 v5, s3
	v_add_co_u32_e32 v0, vcc, s2, v0
	v_addc_co_u32_e32 v1, vcc, v5, v1, vcc
	s_waitcnt vmcnt(0) lgkmcnt(0)
	global_store_dword v[0:1], v2, off
	v_cndmask_b32_e64 v0, v2, 1.0, s[0:1]
	flat_store_dword v[3:4], v0
.LBB4_2:
	s_endpgm
	.section	.rodata,"a",@progbits
	.p2align	6, 0x0
	.amdhsa_kernel _ZN9rocsolver6v33100L8set_diagIfifPKPfTnNSt9enable_ifIXoont18rocblas_is_complexIT_E18rocblas_is_complexIT1_EEiE4typeELi0EEEvPS7_llT2_lT0_lSC_b
		.amdhsa_group_segment_fixed_size 0
		.amdhsa_private_segment_fixed_size 0
		.amdhsa_kernarg_size 320
		.amdhsa_user_sgpr_count 6
		.amdhsa_user_sgpr_private_segment_buffer 1
		.amdhsa_user_sgpr_dispatch_ptr 0
		.amdhsa_user_sgpr_queue_ptr 0
		.amdhsa_user_sgpr_kernarg_segment_ptr 1
		.amdhsa_user_sgpr_dispatch_id 0
		.amdhsa_user_sgpr_flat_scratch_init 0
		.amdhsa_user_sgpr_private_segment_size 0
		.amdhsa_uses_dynamic_stack 0
		.amdhsa_system_sgpr_private_segment_wavefront_offset 0
		.amdhsa_system_sgpr_workgroup_id_x 1
		.amdhsa_system_sgpr_workgroup_id_y 1
		.amdhsa_system_sgpr_workgroup_id_z 0
		.amdhsa_system_sgpr_workgroup_info 0
		.amdhsa_system_vgpr_workitem_id 1
		.amdhsa_next_free_vgpr 6
		.amdhsa_next_free_sgpr 17
		.amdhsa_reserve_vcc 1
		.amdhsa_reserve_flat_scratch 0
		.amdhsa_float_round_mode_32 0
		.amdhsa_float_round_mode_16_64 0
		.amdhsa_float_denorm_mode_32 3
		.amdhsa_float_denorm_mode_16_64 3
		.amdhsa_dx10_clamp 1
		.amdhsa_ieee_mode 1
		.amdhsa_fp16_overflow 0
		.amdhsa_exception_fp_ieee_invalid_op 0
		.amdhsa_exception_fp_denorm_src 0
		.amdhsa_exception_fp_ieee_div_zero 0
		.amdhsa_exception_fp_ieee_overflow 0
		.amdhsa_exception_fp_ieee_underflow 0
		.amdhsa_exception_fp_ieee_inexact 0
		.amdhsa_exception_int_div_zero 0
	.end_amdhsa_kernel
	.section	.text._ZN9rocsolver6v33100L8set_diagIfifPKPfTnNSt9enable_ifIXoont18rocblas_is_complexIT_E18rocblas_is_complexIT1_EEiE4typeELi0EEEvPS7_llT2_lT0_lSC_b,"axG",@progbits,_ZN9rocsolver6v33100L8set_diagIfifPKPfTnNSt9enable_ifIXoont18rocblas_is_complexIT_E18rocblas_is_complexIT1_EEiE4typeELi0EEEvPS7_llT2_lT0_lSC_b,comdat
.Lfunc_end4:
	.size	_ZN9rocsolver6v33100L8set_diagIfifPKPfTnNSt9enable_ifIXoont18rocblas_is_complexIT_E18rocblas_is_complexIT1_EEiE4typeELi0EEEvPS7_llT2_lT0_lSC_b, .Lfunc_end4-_ZN9rocsolver6v33100L8set_diagIfifPKPfTnNSt9enable_ifIXoont18rocblas_is_complexIT_E18rocblas_is_complexIT1_EEiE4typeELi0EEEvPS7_llT2_lT0_lSC_b
                                        ; -- End function
	.set _ZN9rocsolver6v33100L8set_diagIfifPKPfTnNSt9enable_ifIXoont18rocblas_is_complexIT_E18rocblas_is_complexIT1_EEiE4typeELi0EEEvPS7_llT2_lT0_lSC_b.num_vgpr, 6
	.set _ZN9rocsolver6v33100L8set_diagIfifPKPfTnNSt9enable_ifIXoont18rocblas_is_complexIT_E18rocblas_is_complexIT1_EEiE4typeELi0EEEvPS7_llT2_lT0_lSC_b.num_agpr, 0
	.set _ZN9rocsolver6v33100L8set_diagIfifPKPfTnNSt9enable_ifIXoont18rocblas_is_complexIT_E18rocblas_is_complexIT1_EEiE4typeELi0EEEvPS7_llT2_lT0_lSC_b.numbered_sgpr, 17
	.set _ZN9rocsolver6v33100L8set_diagIfifPKPfTnNSt9enable_ifIXoont18rocblas_is_complexIT_E18rocblas_is_complexIT1_EEiE4typeELi0EEEvPS7_llT2_lT0_lSC_b.num_named_barrier, 0
	.set _ZN9rocsolver6v33100L8set_diagIfifPKPfTnNSt9enable_ifIXoont18rocblas_is_complexIT_E18rocblas_is_complexIT1_EEiE4typeELi0EEEvPS7_llT2_lT0_lSC_b.private_seg_size, 0
	.set _ZN9rocsolver6v33100L8set_diagIfifPKPfTnNSt9enable_ifIXoont18rocblas_is_complexIT_E18rocblas_is_complexIT1_EEiE4typeELi0EEEvPS7_llT2_lT0_lSC_b.uses_vcc, 1
	.set _ZN9rocsolver6v33100L8set_diagIfifPKPfTnNSt9enable_ifIXoont18rocblas_is_complexIT_E18rocblas_is_complexIT1_EEiE4typeELi0EEEvPS7_llT2_lT0_lSC_b.uses_flat_scratch, 0
	.set _ZN9rocsolver6v33100L8set_diagIfifPKPfTnNSt9enable_ifIXoont18rocblas_is_complexIT_E18rocblas_is_complexIT1_EEiE4typeELi0EEEvPS7_llT2_lT0_lSC_b.has_dyn_sized_stack, 0
	.set _ZN9rocsolver6v33100L8set_diagIfifPKPfTnNSt9enable_ifIXoont18rocblas_is_complexIT_E18rocblas_is_complexIT1_EEiE4typeELi0EEEvPS7_llT2_lT0_lSC_b.has_recursion, 0
	.set _ZN9rocsolver6v33100L8set_diagIfifPKPfTnNSt9enable_ifIXoont18rocblas_is_complexIT_E18rocblas_is_complexIT1_EEiE4typeELi0EEEvPS7_llT2_lT0_lSC_b.has_indirect_call, 0
	.section	.AMDGPU.csdata,"",@progbits
; Kernel info:
; codeLenInByte = 264
; TotalNumSgprs: 21
; NumVgprs: 6
; ScratchSize: 0
; MemoryBound: 0
; FloatMode: 240
; IeeeMode: 1
; LDSByteSize: 0 bytes/workgroup (compile time only)
; SGPRBlocks: 2
; VGPRBlocks: 1
; NumSGPRsForWavesPerEU: 21
; NumVGPRsForWavesPerEU: 6
; Occupancy: 10
; WaveLimiterHint : 1
; COMPUTE_PGM_RSRC2:SCRATCH_EN: 0
; COMPUTE_PGM_RSRC2:USER_SGPR: 6
; COMPUTE_PGM_RSRC2:TRAP_HANDLER: 0
; COMPUTE_PGM_RSRC2:TGID_X_EN: 1
; COMPUTE_PGM_RSRC2:TGID_Y_EN: 1
; COMPUTE_PGM_RSRC2:TGID_Z_EN: 0
; COMPUTE_PGM_RSRC2:TIDIG_COMP_CNT: 1
	.section	.text._ZN9rocsolver6v33100L16larf_left_kernelILi1024EfiPKPfEEvT1_S5_T2_lS5_lPKT0_lS6_lS5_l,"axG",@progbits,_ZN9rocsolver6v33100L16larf_left_kernelILi1024EfiPKPfEEvT1_S5_T2_lS5_lPKT0_lS6_lS5_l,comdat
	.globl	_ZN9rocsolver6v33100L16larf_left_kernelILi1024EfiPKPfEEvT1_S5_T2_lS5_lPKT0_lS6_lS5_l ; -- Begin function _ZN9rocsolver6v33100L16larf_left_kernelILi1024EfiPKPfEEvT1_S5_T2_lS5_lPKT0_lS6_lS5_l
	.p2align	8
	.type	_ZN9rocsolver6v33100L16larf_left_kernelILi1024EfiPKPfEEvT1_S5_T2_lS5_lPKT0_lS6_lS5_l,@function
_ZN9rocsolver6v33100L16larf_left_kernelILi1024EfiPKPfEEvT1_S5_T2_lS5_lPKT0_lS6_lS5_l: ; @_ZN9rocsolver6v33100L16larf_left_kernelILi1024EfiPKPfEEvT1_S5_T2_lS5_lPKT0_lS6_lS5_l
; %bb.0:
	s_load_dwordx8 s[12:19], s[4:5], 0x28
	s_load_dword s22, s[4:5], 0x0
	s_load_dword s6, s[4:5], 0x48
	s_ashr_i32 s9, s8, 31
	s_lshl_b64 s[20:21], s[8:9], 3
	s_waitcnt lgkmcnt(0)
	s_add_u32 s0, s16, s20
	s_addc_u32 s1, s17, s21
	s_load_dwordx2 s[2:3], s[0:1], 0x0
	v_cmp_gt_i32_e64 s[0:1], s22, v0
	v_mov_b32_e32 v5, 0
	v_lshlrev_b32_e32 v3, 2, v0
	s_mul_hi_i32 s11, s7, s6
	s_mul_i32 s10, s7, s6
	s_and_saveexec_b64 s[6:7], s[0:1]
	s_cbranch_execz .LBB5_6
; %bb.1:
	s_load_dword s16, s[4:5], 0x18
	s_load_dwordx4 s[24:27], s[4:5], 0x8
	s_sub_i32 s4, 1, s22
	v_add3_u32 v4, v3, 0, 64
	v_mov_b32_e32 v6, v4
	s_waitcnt lgkmcnt(0)
	s_ashr_i32 s17, s16, 31
	s_mul_i32 s23, s16, s4
	v_cmp_lt_i64_e64 s[4:5], s[16:17], 1
	v_mad_i64_i32 v[1:2], s[28:29], s16, v0, 0
	s_and_b64 s[4:5], s[4:5], exec
	s_cselect_b32 s4, s23, 0
	s_ashr_i32 s5, s4, 31
	s_add_u32 s20, s24, s20
	s_addc_u32 s21, s25, s21
	s_load_dwordx2 s[20:21], s[20:21], 0x0
	s_lshl_b64 s[24:25], s[26:27], 2
	s_lshl_b64 s[4:5], s[4:5], 2
	v_lshlrev_b64 v[1:2], 2, v[1:2]
	v_mov_b32_e32 v7, v0
	s_waitcnt lgkmcnt(0)
	s_add_u32 s4, s20, s4
	s_addc_u32 s5, s21, s5
	s_add_u32 s4, s4, s24
	s_addc_u32 s5, s5, s25
	v_mov_b32_e32 v5, s5
	v_add_co_u32_e32 v1, vcc, s4, v1
	s_lshl_b64 s[16:17], s[16:17], 12
	v_addc_co_u32_e32 v2, vcc, v5, v2, vcc
	s_mov_b64 s[4:5], 0
	v_mov_b32_e32 v5, s17
.LBB5_2:                                ; =>This Inner Loop Header: Depth=1
	flat_load_dword v8, v[1:2]
	v_add_co_u32_e32 v1, vcc, s16, v1
	v_add_u32_e32 v7, 0x400, v7
	v_addc_co_u32_e32 v2, vcc, v2, v5, vcc
	v_cmp_le_i32_e32 vcc, s22, v7
	s_or_b64 s[4:5], vcc, s[4:5]
	s_waitcnt vmcnt(0) lgkmcnt(0)
	ds_write_b32 v6, v8
	v_add_u32_e32 v6, 0x1000, v6
	s_andn2_b64 exec, exec, s[4:5]
	s_cbranch_execnz .LBB5_2
; %bb.3:
	s_or_b64 exec, exec, s[4:5]
	s_lshl_b64 s[4:5], s[10:11], 2
	s_lshl_b64 s[16:17], s[18:19], 2
	s_add_u32 s4, s4, s16
	s_addc_u32 s5, s5, s17
	s_add_u32 s4, s2, s4
	v_lshlrev_b32_e32 v1, 2, v0
	s_addc_u32 s5, s3, s5
	v_mov_b32_e32 v2, s5
	v_add_co_u32_e32 v1, vcc, s4, v1
	v_mov_b32_e32 v5, 0
	v_addc_co_u32_e32 v2, vcc, 0, v2, vcc
	s_mov_b64 s[4:5], 0
	v_mov_b32_e32 v6, v0
.LBB5_4:                                ; =>This Inner Loop Header: Depth=1
	flat_load_dword v7, v[1:2]
	ds_read_b32 v8, v4
	v_add_co_u32_e32 v1, vcc, 0x1000, v1
	v_add_u32_e32 v6, 0x400, v6
	v_addc_co_u32_e32 v2, vcc, 0, v2, vcc
	v_cmp_le_i32_e32 vcc, s22, v6
	v_add_u32_e32 v4, 0x1000, v4
	s_or_b64 s[4:5], vcc, s[4:5]
	s_waitcnt vmcnt(0) lgkmcnt(0)
	v_fmac_f32_e32 v5, v7, v8
	s_andn2_b64 exec, exec, s[4:5]
	s_cbranch_execnz .LBB5_4
; %bb.5:
	s_or_b64 exec, exec, s[4:5]
.LBB5_6:
	s_or_b64 exec, exec, s[6:7]
	v_mbcnt_lo_u32_b32 v1, -1, 0
	v_mbcnt_hi_u32_b32 v1, -1, v1
	v_and_b32_e32 v2, 63, v1
	v_cmp_ne_u32_e32 vcc, 63, v2
	v_addc_co_u32_e32 v4, vcc, 0, v1, vcc
	v_lshlrev_b32_e32 v4, 2, v4
	ds_bpermute_b32 v4, v4, v5
	v_cmp_gt_u32_e32 vcc, 62, v2
	v_cndmask_b32_e64 v6, 0, 2, vcc
	v_cmp_gt_u32_e32 vcc, 60, v2
	s_waitcnt lgkmcnt(0)
	v_add_f32_e32 v4, v5, v4
	v_add_lshl_u32 v5, v6, v1, 2
	ds_bpermute_b32 v5, v5, v4
	v_cndmask_b32_e64 v6, 0, 4, vcc
	v_add_lshl_u32 v6, v6, v1, 2
	v_cmp_gt_u32_e32 vcc, 56, v2
	s_waitcnt lgkmcnt(0)
	v_add_f32_e32 v4, v4, v5
	ds_bpermute_b32 v5, v6, v4
	v_cndmask_b32_e64 v6, 0, 8, vcc
	v_add_lshl_u32 v6, v6, v1, 2
	v_cmp_gt_u32_e32 vcc, 48, v2
	v_cndmask_b32_e64 v2, 0, 16, vcc
	s_waitcnt lgkmcnt(0)
	v_add_f32_e32 v4, v4, v5
	ds_bpermute_b32 v5, v6, v4
	v_add_lshl_u32 v2, v2, v1, 2
	s_waitcnt lgkmcnt(0)
	v_add_f32_e32 v4, v4, v5
	ds_bpermute_b32 v2, v2, v4
	v_mov_b32_e32 v5, 0x80
	v_lshl_or_b32 v1, v1, 2, v5
	s_waitcnt lgkmcnt(0)
	v_add_f32_e32 v2, v4, v2
	ds_bpermute_b32 v1, v1, v2
	v_and_b32_e32 v4, 63, v0
	v_cmp_eq_u32_e32 vcc, 0, v4
	s_waitcnt lgkmcnt(0)
	v_add_f32_e32 v1, v2, v1
	s_and_saveexec_b64 s[4:5], vcc
; %bb.7:
	v_lshrrev_b32_e32 v2, 4, v0
	v_add_u32_e32 v2, 0, v2
	ds_write_b32 v2, v1
; %bb.8:
	s_or_b64 exec, exec, s[4:5]
	v_cmp_eq_u32_e32 vcc, 0, v0
	s_waitcnt lgkmcnt(0)
	s_barrier
	s_and_saveexec_b64 s[4:5], vcc
	s_cbranch_execz .LBB5_10
; %bb.9:
	v_mov_b32_e32 v14, 0
	ds_read2_b32 v[4:5], v14 offset0:1 offset1:2
	ds_read2_b32 v[6:7], v14 offset0:3 offset1:4
	;; [unrolled: 1-line block ×5, first 2 shown]
	s_waitcnt lgkmcnt(4)
	v_add_f32_e32 v1, v1, v4
	v_add_f32_e32 v1, v1, v5
	s_waitcnt lgkmcnt(3)
	v_add_f32_e32 v1, v1, v6
	v_add_f32_e32 v1, v1, v7
	;; [unrolled: 3-line block ×4, first 2 shown]
	ds_read2_b32 v[1:2], v14 offset0:11 offset1:12
	ds_read2_b32 v[4:5], v14 offset0:13 offset1:14
	ds_read_b32 v7, v14 offset:60
	s_waitcnt lgkmcnt(3)
	v_add_f32_e32 v6, v6, v12
	v_add_f32_e32 v6, v6, v13
	s_waitcnt lgkmcnt(2)
	v_add_f32_e32 v1, v6, v1
	v_add_f32_e32 v1, v1, v2
	;; [unrolled: 3-line block ×3, first 2 shown]
	s_waitcnt lgkmcnt(0)
	v_add_f32_e32 v1, v1, v7
	ds_write_b32 v14, v1
.LBB5_10:
	s_or_b64 exec, exec, s[4:5]
	s_waitcnt lgkmcnt(0)
	s_barrier
	s_and_saveexec_b64 s[4:5], s[0:1]
	s_cbranch_execz .LBB5_13
; %bb.11:
	s_mul_i32 s0, s14, s9
	s_mul_hi_u32 s1, s14, s8
	s_add_i32 s0, s1, s0
	s_mul_i32 s1, s15, s8
	s_add_i32 s1, s0, s1
	s_mul_i32 s0, s14, s8
	s_lshl_b64 s[0:1], s[0:1], 2
	s_add_u32 s0, s12, s0
	s_addc_u32 s1, s13, s1
	v_mov_b32_e32 v1, 0
	s_load_dword s0, s[0:1], 0x0
	ds_read_b32 v1, v1
	s_lshl_b64 s[4:5], s[18:19], 2
	v_add3_u32 v5, v3, 0, 64
	s_waitcnt lgkmcnt(0)
	v_mul_f32_e64 v4, v1, -s0
	s_lshl_b64 s[0:1], s[10:11], 2
	s_add_u32 s0, s0, s4
	s_addc_u32 s1, s1, s5
	s_add_u32 s0, s2, s0
	s_addc_u32 s1, s3, s1
	v_mov_b32_e32 v2, s1
	v_add_co_u32_e32 v1, vcc, s0, v3
	v_addc_co_u32_e32 v2, vcc, 0, v2, vcc
	s_mov_b64 s[0:1], 0
.LBB5_12:                               ; =>This Inner Loop Header: Depth=1
	flat_load_dword v3, v[1:2]
	ds_read_b32 v6, v5
	v_add_u32_e32 v0, 0x400, v0
	v_cmp_le_i32_e32 vcc, s22, v0
	s_or_b64 s[0:1], vcc, s[0:1]
	v_add_u32_e32 v5, 0x1000, v5
	s_waitcnt vmcnt(0) lgkmcnt(0)
	v_fmac_f32_e32 v3, v4, v6
	flat_store_dword v[1:2], v3
	v_add_co_u32_e32 v1, vcc, 0x1000, v1
	v_addc_co_u32_e32 v2, vcc, 0, v2, vcc
	s_andn2_b64 exec, exec, s[0:1]
	s_cbranch_execnz .LBB5_12
.LBB5_13:
	s_endpgm
	.section	.rodata,"a",@progbits
	.p2align	6, 0x0
	.amdhsa_kernel _ZN9rocsolver6v33100L16larf_left_kernelILi1024EfiPKPfEEvT1_S5_T2_lS5_lPKT0_lS6_lS5_l
		.amdhsa_group_segment_fixed_size 0
		.amdhsa_private_segment_fixed_size 0
		.amdhsa_kernarg_size 88
		.amdhsa_user_sgpr_count 6
		.amdhsa_user_sgpr_private_segment_buffer 1
		.amdhsa_user_sgpr_dispatch_ptr 0
		.amdhsa_user_sgpr_queue_ptr 0
		.amdhsa_user_sgpr_kernarg_segment_ptr 1
		.amdhsa_user_sgpr_dispatch_id 0
		.amdhsa_user_sgpr_flat_scratch_init 0
		.amdhsa_user_sgpr_private_segment_size 0
		.amdhsa_uses_dynamic_stack 0
		.amdhsa_system_sgpr_private_segment_wavefront_offset 0
		.amdhsa_system_sgpr_workgroup_id_x 1
		.amdhsa_system_sgpr_workgroup_id_y 1
		.amdhsa_system_sgpr_workgroup_id_z 1
		.amdhsa_system_sgpr_workgroup_info 0
		.amdhsa_system_vgpr_workitem_id 0
		.amdhsa_next_free_vgpr 15
		.amdhsa_next_free_sgpr 30
		.amdhsa_reserve_vcc 1
		.amdhsa_reserve_flat_scratch 0
		.amdhsa_float_round_mode_32 0
		.amdhsa_float_round_mode_16_64 0
		.amdhsa_float_denorm_mode_32 3
		.amdhsa_float_denorm_mode_16_64 3
		.amdhsa_dx10_clamp 1
		.amdhsa_ieee_mode 1
		.amdhsa_fp16_overflow 0
		.amdhsa_exception_fp_ieee_invalid_op 0
		.amdhsa_exception_fp_denorm_src 0
		.amdhsa_exception_fp_ieee_div_zero 0
		.amdhsa_exception_fp_ieee_overflow 0
		.amdhsa_exception_fp_ieee_underflow 0
		.amdhsa_exception_fp_ieee_inexact 0
		.amdhsa_exception_int_div_zero 0
	.end_amdhsa_kernel
	.section	.text._ZN9rocsolver6v33100L16larf_left_kernelILi1024EfiPKPfEEvT1_S5_T2_lS5_lPKT0_lS6_lS5_l,"axG",@progbits,_ZN9rocsolver6v33100L16larf_left_kernelILi1024EfiPKPfEEvT1_S5_T2_lS5_lPKT0_lS6_lS5_l,comdat
.Lfunc_end5:
	.size	_ZN9rocsolver6v33100L16larf_left_kernelILi1024EfiPKPfEEvT1_S5_T2_lS5_lPKT0_lS6_lS5_l, .Lfunc_end5-_ZN9rocsolver6v33100L16larf_left_kernelILi1024EfiPKPfEEvT1_S5_T2_lS5_lPKT0_lS6_lS5_l
                                        ; -- End function
	.set _ZN9rocsolver6v33100L16larf_left_kernelILi1024EfiPKPfEEvT1_S5_T2_lS5_lPKT0_lS6_lS5_l.num_vgpr, 15
	.set _ZN9rocsolver6v33100L16larf_left_kernelILi1024EfiPKPfEEvT1_S5_T2_lS5_lPKT0_lS6_lS5_l.num_agpr, 0
	.set _ZN9rocsolver6v33100L16larf_left_kernelILi1024EfiPKPfEEvT1_S5_T2_lS5_lPKT0_lS6_lS5_l.numbered_sgpr, 30
	.set _ZN9rocsolver6v33100L16larf_left_kernelILi1024EfiPKPfEEvT1_S5_T2_lS5_lPKT0_lS6_lS5_l.num_named_barrier, 0
	.set _ZN9rocsolver6v33100L16larf_left_kernelILi1024EfiPKPfEEvT1_S5_T2_lS5_lPKT0_lS6_lS5_l.private_seg_size, 0
	.set _ZN9rocsolver6v33100L16larf_left_kernelILi1024EfiPKPfEEvT1_S5_T2_lS5_lPKT0_lS6_lS5_l.uses_vcc, 1
	.set _ZN9rocsolver6v33100L16larf_left_kernelILi1024EfiPKPfEEvT1_S5_T2_lS5_lPKT0_lS6_lS5_l.uses_flat_scratch, 0
	.set _ZN9rocsolver6v33100L16larf_left_kernelILi1024EfiPKPfEEvT1_S5_T2_lS5_lPKT0_lS6_lS5_l.has_dyn_sized_stack, 0
	.set _ZN9rocsolver6v33100L16larf_left_kernelILi1024EfiPKPfEEvT1_S5_T2_lS5_lPKT0_lS6_lS5_l.has_recursion, 0
	.set _ZN9rocsolver6v33100L16larf_left_kernelILi1024EfiPKPfEEvT1_S5_T2_lS5_lPKT0_lS6_lS5_l.has_indirect_call, 0
	.section	.AMDGPU.csdata,"",@progbits
; Kernel info:
; codeLenInByte = 1088
; TotalNumSgprs: 34
; NumVgprs: 15
; ScratchSize: 0
; MemoryBound: 0
; FloatMode: 240
; IeeeMode: 1
; LDSByteSize: 0 bytes/workgroup (compile time only)
; SGPRBlocks: 4
; VGPRBlocks: 3
; NumSGPRsForWavesPerEU: 34
; NumVGPRsForWavesPerEU: 15
; Occupancy: 10
; WaveLimiterHint : 0
; COMPUTE_PGM_RSRC2:SCRATCH_EN: 0
; COMPUTE_PGM_RSRC2:USER_SGPR: 6
; COMPUTE_PGM_RSRC2:TRAP_HANDLER: 0
; COMPUTE_PGM_RSRC2:TGID_X_EN: 1
; COMPUTE_PGM_RSRC2:TGID_Y_EN: 1
; COMPUTE_PGM_RSRC2:TGID_Z_EN: 1
; COMPUTE_PGM_RSRC2:TIDIG_COMP_CNT: 0
	.section	.text._ZN9rocsolver6v33100L17larf_right_kernelILi1024EfiPKPfEEvT1_S5_T2_lS5_lPKT0_lS6_lS5_l,"axG",@progbits,_ZN9rocsolver6v33100L17larf_right_kernelILi1024EfiPKPfEEvT1_S5_T2_lS5_lPKT0_lS6_lS5_l,comdat
	.globl	_ZN9rocsolver6v33100L17larf_right_kernelILi1024EfiPKPfEEvT1_S5_T2_lS5_lPKT0_lS6_lS5_l ; -- Begin function _ZN9rocsolver6v33100L17larf_right_kernelILi1024EfiPKPfEEvT1_S5_T2_lS5_lPKT0_lS6_lS5_l
	.p2align	8
	.type	_ZN9rocsolver6v33100L17larf_right_kernelILi1024EfiPKPfEEvT1_S5_T2_lS5_lPKT0_lS6_lS5_l,@function
_ZN9rocsolver6v33100L17larf_right_kernelILi1024EfiPKPfEEvT1_S5_T2_lS5_lPKT0_lS6_lS5_l: ; @_ZN9rocsolver6v33100L17larf_right_kernelILi1024EfiPKPfEEvT1_S5_T2_lS5_lPKT0_lS6_lS5_l
; %bb.0:
	s_load_dwordx8 s[12:19], s[4:5], 0x28
	s_load_dword s22, s[4:5], 0x4
	s_load_dword s2, s[4:5], 0x48
	s_ashr_i32 s9, s8, 31
	s_lshl_b64 s[0:1], s[8:9], 3
	s_waitcnt lgkmcnt(0)
	s_add_u32 s10, s16, s0
	s_addc_u32 s11, s17, s1
	s_load_dwordx2 s[10:11], s[10:11], 0x0
	s_mov_b32 s6, s7
	s_ashr_i32 s7, s7, 31
	v_cmp_gt_i32_e32 vcc, s22, v0
	v_mov_b32_e32 v5, 0
	v_lshlrev_b32_e32 v3, 2, v0
	s_and_saveexec_b64 s[16:17], vcc
	s_cbranch_execz .LBB6_6
; %bb.1:
	s_load_dword s20, s[4:5], 0x18
	s_load_dwordx4 s[24:27], s[4:5], 0x8
	s_sub_i32 s3, 1, s22
	v_add3_u32 v4, v3, 0, 64
	v_mov_b32_e32 v6, v4
	s_waitcnt lgkmcnt(0)
	s_ashr_i32 s21, s20, 31
	v_cmp_lt_i64_e64 s[4:5], s[20:21], 1
	s_mul_i32 s3, s20, s3
	s_and_b64 s[4:5], s[4:5], exec
	s_cselect_b32 s4, s3, 0
	s_ashr_i32 s5, s4, 31
	s_add_u32 s0, s24, s0
	s_addc_u32 s1, s25, s1
	s_load_dwordx2 s[0:1], s[0:1], 0x0
	v_mad_i64_i32 v[1:2], s[28:29], s20, v0, 0
	s_lshl_b64 s[24:25], s[26:27], 2
	s_lshl_b64 s[4:5], s[4:5], 2
	s_waitcnt lgkmcnt(0)
	s_add_u32 s0, s0, s4
	s_addc_u32 s1, s1, s5
	v_lshlrev_b64 v[1:2], 2, v[1:2]
	s_add_u32 s0, s0, s24
	s_addc_u32 s1, s1, s25
	v_mov_b32_e32 v5, s1
	v_add_co_u32_e64 v1, s[0:1], s0, v1
	s_lshl_b64 s[20:21], s[20:21], 12
	v_addc_co_u32_e64 v2, s[0:1], v5, v2, s[0:1]
	s_mov_b64 s[4:5], 0
	v_mov_b32_e32 v5, s21
	v_mov_b32_e32 v7, v0
.LBB6_2:                                ; =>This Inner Loop Header: Depth=1
	flat_load_dword v8, v[1:2]
	v_add_co_u32_e64 v1, s[0:1], s20, v1
	v_add_u32_e32 v7, 0x400, v7
	v_addc_co_u32_e64 v2, s[0:1], v2, v5, s[0:1]
	v_cmp_le_i32_e64 s[0:1], s22, v7
	s_or_b64 s[4:5], s[0:1], s[4:5]
	s_waitcnt vmcnt(0) lgkmcnt(0)
	ds_write_b32 v6, v8
	v_add_u32_e32 v6, 0x1000, v6
	s_andn2_b64 exec, exec, s[4:5]
	s_cbranch_execnz .LBB6_2
; %bb.3:
	s_or_b64 exec, exec, s[4:5]
	v_mad_i64_i32 v[1:2], s[0:1], s2, v0, 0
	s_ashr_i32 s3, s2, 31
	s_lshl_b64 s[0:1], s[18:19], 2
	s_lshl_b64 s[4:5], s[6:7], 2
	s_add_u32 s4, s10, s4
	s_addc_u32 s5, s11, s5
	v_lshlrev_b64 v[1:2], 2, v[1:2]
	s_add_u32 s0, s4, s0
	s_addc_u32 s1, s5, s1
	v_mov_b32_e32 v5, s1
	v_add_co_u32_e64 v1, s[0:1], s0, v1
	s_lshl_b64 s[4:5], s[2:3], 12
	v_addc_co_u32_e64 v2, s[0:1], v5, v2, s[0:1]
	v_mov_b32_e32 v5, 0
	s_mov_b64 s[20:21], 0
	v_mov_b32_e32 v6, s5
	v_mov_b32_e32 v7, v0
.LBB6_4:                                ; =>This Inner Loop Header: Depth=1
	flat_load_dword v8, v[1:2]
	ds_read_b32 v9, v4
	v_add_co_u32_e64 v1, s[0:1], s4, v1
	v_add_u32_e32 v7, 0x400, v7
	v_addc_co_u32_e64 v2, s[0:1], v2, v6, s[0:1]
	v_cmp_le_i32_e64 s[0:1], s22, v7
	v_add_u32_e32 v4, 0x1000, v4
	s_or_b64 s[20:21], s[0:1], s[20:21]
	s_waitcnt vmcnt(0) lgkmcnt(0)
	v_fmac_f32_e32 v5, v8, v9
	s_andn2_b64 exec, exec, s[20:21]
	s_cbranch_execnz .LBB6_4
; %bb.5:
	s_or_b64 exec, exec, s[20:21]
.LBB6_6:
	s_or_b64 exec, exec, s[16:17]
	v_mbcnt_lo_u32_b32 v1, -1, 0
	v_mbcnt_hi_u32_b32 v1, -1, v1
	v_and_b32_e32 v2, 63, v1
	v_cmp_ne_u32_e64 s[0:1], 63, v2
	v_addc_co_u32_e64 v4, s[0:1], 0, v1, s[0:1]
	v_lshlrev_b32_e32 v4, 2, v4
	ds_bpermute_b32 v4, v4, v5
	v_cmp_gt_u32_e64 s[0:1], 62, v2
	v_cndmask_b32_e64 v6, 0, 2, s[0:1]
	v_cmp_gt_u32_e64 s[0:1], 60, v2
	s_waitcnt lgkmcnt(0)
	v_add_f32_e32 v4, v5, v4
	v_add_lshl_u32 v5, v6, v1, 2
	ds_bpermute_b32 v5, v5, v4
	v_cndmask_b32_e64 v6, 0, 4, s[0:1]
	v_add_lshl_u32 v6, v6, v1, 2
	v_cmp_gt_u32_e64 s[0:1], 56, v2
	s_waitcnt lgkmcnt(0)
	v_add_f32_e32 v4, v4, v5
	ds_bpermute_b32 v5, v6, v4
	v_cndmask_b32_e64 v6, 0, 8, s[0:1]
	v_add_lshl_u32 v6, v6, v1, 2
	v_cmp_gt_u32_e64 s[0:1], 48, v2
	v_cndmask_b32_e64 v2, 0, 16, s[0:1]
	s_waitcnt lgkmcnt(0)
	v_add_f32_e32 v4, v4, v5
	ds_bpermute_b32 v5, v6, v4
	v_add_lshl_u32 v2, v2, v1, 2
	s_waitcnt lgkmcnt(0)
	v_add_f32_e32 v4, v4, v5
	ds_bpermute_b32 v2, v2, v4
	v_mov_b32_e32 v5, 0x80
	v_lshl_or_b32 v1, v1, 2, v5
	s_waitcnt lgkmcnt(0)
	v_add_f32_e32 v2, v4, v2
	ds_bpermute_b32 v1, v1, v2
	v_and_b32_e32 v4, 63, v0
	v_cmp_eq_u32_e64 s[0:1], 0, v4
	s_waitcnt lgkmcnt(0)
	v_add_f32_e32 v1, v2, v1
	s_and_saveexec_b64 s[4:5], s[0:1]
; %bb.7:
	v_lshrrev_b32_e32 v2, 4, v0
	v_add_u32_e32 v2, 0, v2
	ds_write_b32 v2, v1
; %bb.8:
	s_or_b64 exec, exec, s[4:5]
	v_cmp_eq_u32_e64 s[0:1], 0, v0
	s_waitcnt lgkmcnt(0)
	s_barrier
	s_and_saveexec_b64 s[4:5], s[0:1]
	s_cbranch_execz .LBB6_10
; %bb.9:
	v_mov_b32_e32 v14, 0
	ds_read2_b32 v[4:5], v14 offset0:1 offset1:2
	ds_read2_b32 v[6:7], v14 offset0:3 offset1:4
	;; [unrolled: 1-line block ×5, first 2 shown]
	s_waitcnt lgkmcnt(4)
	v_add_f32_e32 v1, v1, v4
	v_add_f32_e32 v1, v1, v5
	s_waitcnt lgkmcnt(3)
	v_add_f32_e32 v1, v1, v6
	v_add_f32_e32 v1, v1, v7
	;; [unrolled: 3-line block ×4, first 2 shown]
	ds_read2_b32 v[1:2], v14 offset0:11 offset1:12
	ds_read2_b32 v[4:5], v14 offset0:13 offset1:14
	ds_read_b32 v7, v14 offset:60
	s_waitcnt lgkmcnt(3)
	v_add_f32_e32 v6, v6, v12
	v_add_f32_e32 v6, v6, v13
	s_waitcnt lgkmcnt(2)
	v_add_f32_e32 v1, v6, v1
	v_add_f32_e32 v1, v1, v2
	;; [unrolled: 3-line block ×3, first 2 shown]
	s_waitcnt lgkmcnt(0)
	v_add_f32_e32 v1, v1, v7
	ds_write_b32 v14, v1
.LBB6_10:
	s_or_b64 exec, exec, s[4:5]
	s_waitcnt lgkmcnt(0)
	s_barrier
	s_and_saveexec_b64 s[0:1], vcc
	s_cbranch_execz .LBB6_13
; %bb.11:
	s_mul_i32 s0, s14, s9
	s_mul_hi_u32 s1, s14, s8
	s_add_i32 s0, s1, s0
	s_mul_i32 s1, s15, s8
	s_add_i32 s1, s0, s1
	s_mul_i32 s0, s14, s8
	s_lshl_b64 s[0:1], s[0:1], 2
	s_add_u32 s0, s12, s0
	s_addc_u32 s1, s13, s1
	v_mov_b32_e32 v1, 0
	s_load_dword s3, s[0:1], 0x0
	ds_read_b32 v4, v1
	v_mad_i64_i32 v[1:2], s[0:1], s2, v0, 0
	s_lshl_b64 s[0:1], s[18:19], 2
	s_lshl_b64 s[4:5], s[6:7], 2
	s_waitcnt lgkmcnt(0)
	v_mul_f32_e64 v4, v4, -s3
	s_ashr_i32 s3, s2, 31
	s_add_u32 s4, s10, s4
	s_addc_u32 s5, s11, s5
	v_lshlrev_b64 v[1:2], 2, v[1:2]
	s_add_u32 s0, s4, s0
	s_addc_u32 s1, s5, s1
	v_mov_b32_e32 v5, s1
	v_add_co_u32_e32 v1, vcc, s0, v1
	s_lshl_b64 s[0:1], s[2:3], 12
	v_add3_u32 v3, v3, 0, 64
	v_addc_co_u32_e32 v2, vcc, v5, v2, vcc
	s_mov_b64 s[2:3], 0
	v_mov_b32_e32 v5, s1
.LBB6_12:                               ; =>This Inner Loop Header: Depth=1
	flat_load_dword v6, v[1:2]
	ds_read_b32 v7, v3
	v_add_u32_e32 v0, 0x400, v0
	v_cmp_le_i32_e32 vcc, s22, v0
	s_or_b64 s[2:3], vcc, s[2:3]
	v_add_u32_e32 v3, 0x1000, v3
	s_waitcnt vmcnt(0) lgkmcnt(0)
	v_fmac_f32_e32 v6, v4, v7
	flat_store_dword v[1:2], v6
	v_add_co_u32_e32 v1, vcc, s0, v1
	v_addc_co_u32_e32 v2, vcc, v2, v5, vcc
	s_andn2_b64 exec, exec, s[2:3]
	s_cbranch_execnz .LBB6_12
.LBB6_13:
	s_endpgm
	.section	.rodata,"a",@progbits
	.p2align	6, 0x0
	.amdhsa_kernel _ZN9rocsolver6v33100L17larf_right_kernelILi1024EfiPKPfEEvT1_S5_T2_lS5_lPKT0_lS6_lS5_l
		.amdhsa_group_segment_fixed_size 0
		.amdhsa_private_segment_fixed_size 0
		.amdhsa_kernarg_size 88
		.amdhsa_user_sgpr_count 6
		.amdhsa_user_sgpr_private_segment_buffer 1
		.amdhsa_user_sgpr_dispatch_ptr 0
		.amdhsa_user_sgpr_queue_ptr 0
		.amdhsa_user_sgpr_kernarg_segment_ptr 1
		.amdhsa_user_sgpr_dispatch_id 0
		.amdhsa_user_sgpr_flat_scratch_init 0
		.amdhsa_user_sgpr_private_segment_size 0
		.amdhsa_uses_dynamic_stack 0
		.amdhsa_system_sgpr_private_segment_wavefront_offset 0
		.amdhsa_system_sgpr_workgroup_id_x 1
		.amdhsa_system_sgpr_workgroup_id_y 1
		.amdhsa_system_sgpr_workgroup_id_z 1
		.amdhsa_system_sgpr_workgroup_info 0
		.amdhsa_system_vgpr_workitem_id 0
		.amdhsa_next_free_vgpr 15
		.amdhsa_next_free_sgpr 30
		.amdhsa_reserve_vcc 1
		.amdhsa_reserve_flat_scratch 0
		.amdhsa_float_round_mode_32 0
		.amdhsa_float_round_mode_16_64 0
		.amdhsa_float_denorm_mode_32 3
		.amdhsa_float_denorm_mode_16_64 3
		.amdhsa_dx10_clamp 1
		.amdhsa_ieee_mode 1
		.amdhsa_fp16_overflow 0
		.amdhsa_exception_fp_ieee_invalid_op 0
		.amdhsa_exception_fp_denorm_src 0
		.amdhsa_exception_fp_ieee_div_zero 0
		.amdhsa_exception_fp_ieee_overflow 0
		.amdhsa_exception_fp_ieee_underflow 0
		.amdhsa_exception_fp_ieee_inexact 0
		.amdhsa_exception_int_div_zero 0
	.end_amdhsa_kernel
	.section	.text._ZN9rocsolver6v33100L17larf_right_kernelILi1024EfiPKPfEEvT1_S5_T2_lS5_lPKT0_lS6_lS5_l,"axG",@progbits,_ZN9rocsolver6v33100L17larf_right_kernelILi1024EfiPKPfEEvT1_S5_T2_lS5_lPKT0_lS6_lS5_l,comdat
.Lfunc_end6:
	.size	_ZN9rocsolver6v33100L17larf_right_kernelILi1024EfiPKPfEEvT1_S5_T2_lS5_lPKT0_lS6_lS5_l, .Lfunc_end6-_ZN9rocsolver6v33100L17larf_right_kernelILi1024EfiPKPfEEvT1_S5_T2_lS5_lPKT0_lS6_lS5_l
                                        ; -- End function
	.set _ZN9rocsolver6v33100L17larf_right_kernelILi1024EfiPKPfEEvT1_S5_T2_lS5_lPKT0_lS6_lS5_l.num_vgpr, 15
	.set _ZN9rocsolver6v33100L17larf_right_kernelILi1024EfiPKPfEEvT1_S5_T2_lS5_lPKT0_lS6_lS5_l.num_agpr, 0
	.set _ZN9rocsolver6v33100L17larf_right_kernelILi1024EfiPKPfEEvT1_S5_T2_lS5_lPKT0_lS6_lS5_l.numbered_sgpr, 30
	.set _ZN9rocsolver6v33100L17larf_right_kernelILi1024EfiPKPfEEvT1_S5_T2_lS5_lPKT0_lS6_lS5_l.num_named_barrier, 0
	.set _ZN9rocsolver6v33100L17larf_right_kernelILi1024EfiPKPfEEvT1_S5_T2_lS5_lPKT0_lS6_lS5_l.private_seg_size, 0
	.set _ZN9rocsolver6v33100L17larf_right_kernelILi1024EfiPKPfEEvT1_S5_T2_lS5_lPKT0_lS6_lS5_l.uses_vcc, 1
	.set _ZN9rocsolver6v33100L17larf_right_kernelILi1024EfiPKPfEEvT1_S5_T2_lS5_lPKT0_lS6_lS5_l.uses_flat_scratch, 0
	.set _ZN9rocsolver6v33100L17larf_right_kernelILi1024EfiPKPfEEvT1_S5_T2_lS5_lPKT0_lS6_lS5_l.has_dyn_sized_stack, 0
	.set _ZN9rocsolver6v33100L17larf_right_kernelILi1024EfiPKPfEEvT1_S5_T2_lS5_lPKT0_lS6_lS5_l.has_recursion, 0
	.set _ZN9rocsolver6v33100L17larf_right_kernelILi1024EfiPKPfEEvT1_S5_T2_lS5_lPKT0_lS6_lS5_l.has_indirect_call, 0
	.section	.AMDGPU.csdata,"",@progbits
; Kernel info:
; codeLenInByte = 1200
; TotalNumSgprs: 34
; NumVgprs: 15
; ScratchSize: 0
; MemoryBound: 0
; FloatMode: 240
; IeeeMode: 1
; LDSByteSize: 0 bytes/workgroup (compile time only)
; SGPRBlocks: 4
; VGPRBlocks: 3
; NumSGPRsForWavesPerEU: 34
; NumVGPRsForWavesPerEU: 15
; Occupancy: 10
; WaveLimiterHint : 0
; COMPUTE_PGM_RSRC2:SCRATCH_EN: 0
; COMPUTE_PGM_RSRC2:USER_SGPR: 6
; COMPUTE_PGM_RSRC2:TRAP_HANDLER: 0
; COMPUTE_PGM_RSRC2:TGID_X_EN: 1
; COMPUTE_PGM_RSRC2:TGID_Y_EN: 1
; COMPUTE_PGM_RSRC2:TGID_Z_EN: 1
; COMPUTE_PGM_RSRC2:TIDIG_COMP_CNT: 0
	.section	.text._ZN9rocsolver6v33100L9get_arrayIfiEEvPPT_S3_lT0_,"axG",@progbits,_ZN9rocsolver6v33100L9get_arrayIfiEEvPPT_S3_lT0_,comdat
	.globl	_ZN9rocsolver6v33100L9get_arrayIfiEEvPPT_S3_lT0_ ; -- Begin function _ZN9rocsolver6v33100L9get_arrayIfiEEvPPT_S3_lT0_
	.p2align	8
	.type	_ZN9rocsolver6v33100L9get_arrayIfiEEvPPT_S3_lT0_,@function
_ZN9rocsolver6v33100L9get_arrayIfiEEvPPT_S3_lT0_: ; @_ZN9rocsolver6v33100L9get_arrayIfiEEvPPT_S3_lT0_
; %bb.0:
	s_load_dword s0, s[4:5], 0x2c
	s_load_dword s1, s[4:5], 0x18
	s_waitcnt lgkmcnt(0)
	s_and_b32 s0, s0, 0xffff
	s_mul_i32 s6, s6, s0
	v_add_u32_e32 v0, s6, v0
	v_cmp_gt_i32_e32 vcc, s1, v0
	s_and_saveexec_b64 s[0:1], vcc
	s_cbranch_execz .LBB7_2
; %bb.1:
	s_load_dwordx2 s[6:7], s[4:5], 0x10
	s_load_dwordx4 s[0:3], s[4:5], 0x0
	v_ashrrev_i32_e32 v1, 31, v0
	s_waitcnt lgkmcnt(0)
	v_mul_lo_u32 v4, s7, v0
	v_mul_lo_u32 v5, s6, v1
	v_mad_u64_u32 v[2:3], s[4:5], s6, v0, 0
	v_mov_b32_e32 v6, s3
	v_lshlrev_b64 v[0:1], 3, v[0:1]
	v_add3_u32 v3, v3, v5, v4
	v_lshlrev_b64 v[2:3], 2, v[2:3]
	v_mov_b32_e32 v4, s1
	v_add_co_u32_e32 v2, vcc, s2, v2
	v_addc_co_u32_e32 v3, vcc, v6, v3, vcc
	v_add_co_u32_e32 v0, vcc, s0, v0
	v_addc_co_u32_e32 v1, vcc, v4, v1, vcc
	global_store_dwordx2 v[0:1], v[2:3], off
.LBB7_2:
	s_endpgm
	.section	.rodata,"a",@progbits
	.p2align	6, 0x0
	.amdhsa_kernel _ZN9rocsolver6v33100L9get_arrayIfiEEvPPT_S3_lT0_
		.amdhsa_group_segment_fixed_size 0
		.amdhsa_private_segment_fixed_size 0
		.amdhsa_kernarg_size 288
		.amdhsa_user_sgpr_count 6
		.amdhsa_user_sgpr_private_segment_buffer 1
		.amdhsa_user_sgpr_dispatch_ptr 0
		.amdhsa_user_sgpr_queue_ptr 0
		.amdhsa_user_sgpr_kernarg_segment_ptr 1
		.amdhsa_user_sgpr_dispatch_id 0
		.amdhsa_user_sgpr_flat_scratch_init 0
		.amdhsa_user_sgpr_private_segment_size 0
		.amdhsa_uses_dynamic_stack 0
		.amdhsa_system_sgpr_private_segment_wavefront_offset 0
		.amdhsa_system_sgpr_workgroup_id_x 1
		.amdhsa_system_sgpr_workgroup_id_y 0
		.amdhsa_system_sgpr_workgroup_id_z 0
		.amdhsa_system_sgpr_workgroup_info 0
		.amdhsa_system_vgpr_workitem_id 0
		.amdhsa_next_free_vgpr 7
		.amdhsa_next_free_sgpr 8
		.amdhsa_reserve_vcc 1
		.amdhsa_reserve_flat_scratch 0
		.amdhsa_float_round_mode_32 0
		.amdhsa_float_round_mode_16_64 0
		.amdhsa_float_denorm_mode_32 3
		.amdhsa_float_denorm_mode_16_64 3
		.amdhsa_dx10_clamp 1
		.amdhsa_ieee_mode 1
		.amdhsa_fp16_overflow 0
		.amdhsa_exception_fp_ieee_invalid_op 0
		.amdhsa_exception_fp_denorm_src 0
		.amdhsa_exception_fp_ieee_div_zero 0
		.amdhsa_exception_fp_ieee_overflow 0
		.amdhsa_exception_fp_ieee_underflow 0
		.amdhsa_exception_fp_ieee_inexact 0
		.amdhsa_exception_int_div_zero 0
	.end_amdhsa_kernel
	.section	.text._ZN9rocsolver6v33100L9get_arrayIfiEEvPPT_S3_lT0_,"axG",@progbits,_ZN9rocsolver6v33100L9get_arrayIfiEEvPPT_S3_lT0_,comdat
.Lfunc_end7:
	.size	_ZN9rocsolver6v33100L9get_arrayIfiEEvPPT_S3_lT0_, .Lfunc_end7-_ZN9rocsolver6v33100L9get_arrayIfiEEvPPT_S3_lT0_
                                        ; -- End function
	.set _ZN9rocsolver6v33100L9get_arrayIfiEEvPPT_S3_lT0_.num_vgpr, 7
	.set _ZN9rocsolver6v33100L9get_arrayIfiEEvPPT_S3_lT0_.num_agpr, 0
	.set _ZN9rocsolver6v33100L9get_arrayIfiEEvPPT_S3_lT0_.numbered_sgpr, 8
	.set _ZN9rocsolver6v33100L9get_arrayIfiEEvPPT_S3_lT0_.num_named_barrier, 0
	.set _ZN9rocsolver6v33100L9get_arrayIfiEEvPPT_S3_lT0_.private_seg_size, 0
	.set _ZN9rocsolver6v33100L9get_arrayIfiEEvPPT_S3_lT0_.uses_vcc, 1
	.set _ZN9rocsolver6v33100L9get_arrayIfiEEvPPT_S3_lT0_.uses_flat_scratch, 0
	.set _ZN9rocsolver6v33100L9get_arrayIfiEEvPPT_S3_lT0_.has_dyn_sized_stack, 0
	.set _ZN9rocsolver6v33100L9get_arrayIfiEEvPPT_S3_lT0_.has_recursion, 0
	.set _ZN9rocsolver6v33100L9get_arrayIfiEEvPPT_S3_lT0_.has_indirect_call, 0
	.section	.AMDGPU.csdata,"",@progbits
; Kernel info:
; codeLenInByte = 156
; TotalNumSgprs: 12
; NumVgprs: 7
; ScratchSize: 0
; MemoryBound: 0
; FloatMode: 240
; IeeeMode: 1
; LDSByteSize: 0 bytes/workgroup (compile time only)
; SGPRBlocks: 1
; VGPRBlocks: 1
; NumSGPRsForWavesPerEU: 12
; NumVGPRsForWavesPerEU: 7
; Occupancy: 10
; WaveLimiterHint : 0
; COMPUTE_PGM_RSRC2:SCRATCH_EN: 0
; COMPUTE_PGM_RSRC2:USER_SGPR: 6
; COMPUTE_PGM_RSRC2:TRAP_HANDLER: 0
; COMPUTE_PGM_RSRC2:TGID_X_EN: 1
; COMPUTE_PGM_RSRC2:TGID_Y_EN: 0
; COMPUTE_PGM_RSRC2:TGID_Z_EN: 0
; COMPUTE_PGM_RSRC2:TIDIG_COMP_CNT: 0
	.section	.text._ZN9rocsolver6v33100L12restore_diagIfifPKPfEEvPT1_llT2_lT0_lS8_,"axG",@progbits,_ZN9rocsolver6v33100L12restore_diagIfifPKPfEEvPT1_llT2_lT0_lS8_,comdat
	.globl	_ZN9rocsolver6v33100L12restore_diagIfifPKPfEEvPT1_llT2_lT0_lS8_ ; -- Begin function _ZN9rocsolver6v33100L12restore_diagIfifPKPfEEvPT1_llT2_lT0_lS8_
	.p2align	8
	.type	_ZN9rocsolver6v33100L12restore_diagIfifPKPfEEvPT1_llT2_lT0_lS8_,@function
_ZN9rocsolver6v33100L12restore_diagIfifPKPfEEvPT1_llT2_lT0_lS8_: ; @_ZN9rocsolver6v33100L12restore_diagIfifPKPfEEvPT1_llT2_lT0_lS8_
; %bb.0:
	s_load_dword s0, s[4:5], 0x4c
	s_load_dword s1, s[4:5], 0x38
	s_waitcnt lgkmcnt(0)
	s_lshr_b32 s0, s0, 16
	s_mul_i32 s7, s7, s0
	v_add_u32_e32 v0, s7, v1
	v_cmp_gt_i32_e32 vcc, s1, v0
	s_and_saveexec_b64 s[0:1], vcc
	s_cbranch_execz .LBB8_2
; %bb.1:
	s_load_dwordx8 s[8:15], s[4:5], 0x0
	s_load_dwordx2 s[0:1], s[4:5], 0x20
	s_ashr_i32 s7, s6, 31
	s_lshl_b64 s[2:3], s[6:7], 3
	s_waitcnt lgkmcnt(0)
	s_add_u32 s2, s14, s2
	s_addc_u32 s3, s15, s3
	s_load_dwordx2 s[14:15], s[2:3], 0x0
	s_load_dword s16, s[4:5], 0x28
	s_lshl_b64 s[0:1], s[0:1], 2
	s_mul_hi_u32 s2, s12, s6
	s_mul_i32 s3, s12, s7
	s_waitcnt lgkmcnt(0)
	s_add_u32 s4, s14, s0
	s_addc_u32 s5, s15, s1
	s_add_i32 s0, s2, s3
	s_mul_i32 s1, s13, s6
	s_add_i32 s1, s0, s1
	s_mul_i32 s0, s12, s6
	s_lshl_b64 s[0:1], s[0:1], 2
	s_add_u32 s2, s8, s0
	s_addc_u32 s3, s9, s1
	s_lshl_b64 s[0:1], s[10:11], 2
	s_add_u32 s2, s2, s0
	s_addc_u32 s3, s3, s1
	v_mad_u64_u32 v[2:3], s[0:1], v0, s16, v[0:1]
	v_ashrrev_i32_e32 v1, 31, v0
	v_lshlrev_b64 v[0:1], 2, v[0:1]
	v_mov_b32_e32 v3, s3
	v_add_co_u32_e32 v0, vcc, s2, v0
	v_addc_co_u32_e32 v1, vcc, v3, v1, vcc
	global_load_dword v4, v[0:1], off
	v_ashrrev_i32_e32 v3, 31, v2
	v_lshlrev_b64 v[0:1], 2, v[2:3]
	v_mov_b32_e32 v2, s5
	v_add_co_u32_e32 v0, vcc, s4, v0
	v_addc_co_u32_e32 v1, vcc, v2, v1, vcc
	s_waitcnt vmcnt(0)
	flat_store_dword v[0:1], v4
.LBB8_2:
	s_endpgm
	.section	.rodata,"a",@progbits
	.p2align	6, 0x0
	.amdhsa_kernel _ZN9rocsolver6v33100L12restore_diagIfifPKPfEEvPT1_llT2_lT0_lS8_
		.amdhsa_group_segment_fixed_size 0
		.amdhsa_private_segment_fixed_size 0
		.amdhsa_kernarg_size 320
		.amdhsa_user_sgpr_count 6
		.amdhsa_user_sgpr_private_segment_buffer 1
		.amdhsa_user_sgpr_dispatch_ptr 0
		.amdhsa_user_sgpr_queue_ptr 0
		.amdhsa_user_sgpr_kernarg_segment_ptr 1
		.amdhsa_user_sgpr_dispatch_id 0
		.amdhsa_user_sgpr_flat_scratch_init 0
		.amdhsa_user_sgpr_private_segment_size 0
		.amdhsa_uses_dynamic_stack 0
		.amdhsa_system_sgpr_private_segment_wavefront_offset 0
		.amdhsa_system_sgpr_workgroup_id_x 1
		.amdhsa_system_sgpr_workgroup_id_y 1
		.amdhsa_system_sgpr_workgroup_id_z 0
		.amdhsa_system_sgpr_workgroup_info 0
		.amdhsa_system_vgpr_workitem_id 1
		.amdhsa_next_free_vgpr 5
		.amdhsa_next_free_sgpr 17
		.amdhsa_reserve_vcc 1
		.amdhsa_reserve_flat_scratch 0
		.amdhsa_float_round_mode_32 0
		.amdhsa_float_round_mode_16_64 0
		.amdhsa_float_denorm_mode_32 3
		.amdhsa_float_denorm_mode_16_64 3
		.amdhsa_dx10_clamp 1
		.amdhsa_ieee_mode 1
		.amdhsa_fp16_overflow 0
		.amdhsa_exception_fp_ieee_invalid_op 0
		.amdhsa_exception_fp_denorm_src 0
		.amdhsa_exception_fp_ieee_div_zero 0
		.amdhsa_exception_fp_ieee_overflow 0
		.amdhsa_exception_fp_ieee_underflow 0
		.amdhsa_exception_fp_ieee_inexact 0
		.amdhsa_exception_int_div_zero 0
	.end_amdhsa_kernel
	.section	.text._ZN9rocsolver6v33100L12restore_diagIfifPKPfEEvPT1_llT2_lT0_lS8_,"axG",@progbits,_ZN9rocsolver6v33100L12restore_diagIfifPKPfEEvPT1_llT2_lT0_lS8_,comdat
.Lfunc_end8:
	.size	_ZN9rocsolver6v33100L12restore_diagIfifPKPfEEvPT1_llT2_lT0_lS8_, .Lfunc_end8-_ZN9rocsolver6v33100L12restore_diagIfifPKPfEEvPT1_llT2_lT0_lS8_
                                        ; -- End function
	.set _ZN9rocsolver6v33100L12restore_diagIfifPKPfEEvPT1_llT2_lT0_lS8_.num_vgpr, 5
	.set _ZN9rocsolver6v33100L12restore_diagIfifPKPfEEvPT1_llT2_lT0_lS8_.num_agpr, 0
	.set _ZN9rocsolver6v33100L12restore_diagIfifPKPfEEvPT1_llT2_lT0_lS8_.numbered_sgpr, 17
	.set _ZN9rocsolver6v33100L12restore_diagIfifPKPfEEvPT1_llT2_lT0_lS8_.num_named_barrier, 0
	.set _ZN9rocsolver6v33100L12restore_diagIfifPKPfEEvPT1_llT2_lT0_lS8_.private_seg_size, 0
	.set _ZN9rocsolver6v33100L12restore_diagIfifPKPfEEvPT1_llT2_lT0_lS8_.uses_vcc, 1
	.set _ZN9rocsolver6v33100L12restore_diagIfifPKPfEEvPT1_llT2_lT0_lS8_.uses_flat_scratch, 0
	.set _ZN9rocsolver6v33100L12restore_diagIfifPKPfEEvPT1_llT2_lT0_lS8_.has_dyn_sized_stack, 0
	.set _ZN9rocsolver6v33100L12restore_diagIfifPKPfEEvPT1_llT2_lT0_lS8_.has_recursion, 0
	.set _ZN9rocsolver6v33100L12restore_diagIfifPKPfEEvPT1_llT2_lT0_lS8_.has_indirect_call, 0
	.section	.AMDGPU.csdata,"",@progbits
; Kernel info:
; codeLenInByte = 240
; TotalNumSgprs: 21
; NumVgprs: 5
; ScratchSize: 0
; MemoryBound: 0
; FloatMode: 240
; IeeeMode: 1
; LDSByteSize: 0 bytes/workgroup (compile time only)
; SGPRBlocks: 2
; VGPRBlocks: 1
; NumSGPRsForWavesPerEU: 21
; NumVGPRsForWavesPerEU: 5
; Occupancy: 10
; WaveLimiterHint : 1
; COMPUTE_PGM_RSRC2:SCRATCH_EN: 0
; COMPUTE_PGM_RSRC2:USER_SGPR: 6
; COMPUTE_PGM_RSRC2:TRAP_HANDLER: 0
; COMPUTE_PGM_RSRC2:TGID_X_EN: 1
; COMPUTE_PGM_RSRC2:TGID_Y_EN: 1
; COMPUTE_PGM_RSRC2:TGID_Z_EN: 0
; COMPUTE_PGM_RSRC2:TIDIG_COMP_CNT: 1
	.section	.text._ZN9rocsolver6v33100L14set_triangularIfPKPfTnNSt9enable_ifIXnt18rocblas_is_complexIT_EEiE4typeELi0EEEviiT0_iilPS6_lSA_il15rocblas_direct_15rocblas_storev_b,"axG",@progbits,_ZN9rocsolver6v33100L14set_triangularIfPKPfTnNSt9enable_ifIXnt18rocblas_is_complexIT_EEiE4typeELi0EEEviiT0_iilPS6_lSA_il15rocblas_direct_15rocblas_storev_b,comdat
	.globl	_ZN9rocsolver6v33100L14set_triangularIfPKPfTnNSt9enable_ifIXnt18rocblas_is_complexIT_EEiE4typeELi0EEEviiT0_iilPS6_lSA_il15rocblas_direct_15rocblas_storev_b ; -- Begin function _ZN9rocsolver6v33100L14set_triangularIfPKPfTnNSt9enable_ifIXnt18rocblas_is_complexIT_EEiE4typeELi0EEEviiT0_iilPS6_lSA_il15rocblas_direct_15rocblas_storev_b
	.p2align	8
	.type	_ZN9rocsolver6v33100L14set_triangularIfPKPfTnNSt9enable_ifIXnt18rocblas_is_complexIT_EEiE4typeELi0EEEviiT0_iilPS6_lSA_il15rocblas_direct_15rocblas_storev_b,@function
_ZN9rocsolver6v33100L14set_triangularIfPKPfTnNSt9enable_ifIXnt18rocblas_is_complexIT_EEiE4typeELi0EEEviiT0_iilPS6_lSA_il15rocblas_direct_15rocblas_storev_b: ; @_ZN9rocsolver6v33100L14set_triangularIfPKPfTnNSt9enable_ifIXnt18rocblas_is_complexIT_EEiE4typeELi0EEEviiT0_iilPS6_lSA_il15rocblas_direct_15rocblas_storev_b
; %bb.0:
	s_load_dword s0, s[4:5], 0x64
	s_load_dwordx2 s[10:11], s[4:5], 0x0
	s_waitcnt lgkmcnt(0)
	s_lshr_b32 s1, s0, 16
	s_and_b32 s0, s0, 0xffff
	s_mul_i32 s6, s6, s0
	s_mul_i32 s7, s7, s1
	v_add_u32_e32 v2, s6, v0
	v_add_u32_e32 v0, s7, v1
	v_max_u32_e32 v1, v2, v0
	v_cmp_gt_u32_e32 vcc, s11, v1
	s_and_saveexec_b64 s[0:1], vcc
	s_cbranch_execz .LBB9_36
; %bb.1:
	s_load_dwordx4 s[0:3], s[4:5], 0x20
	s_load_dwordx2 s[6:7], s[4:5], 0x30
	s_load_dword s16, s[4:5], 0x38
	s_load_dwordx2 s[12:13], s[4:5], 0x40
	v_cmp_ne_u32_e32 vcc, v0, v2
	s_waitcnt lgkmcnt(0)
	s_mul_i32 s3, s3, s8
	s_mul_hi_u32 s9, s2, s8
	s_add_i32 s3, s9, s3
	s_mul_i32 s2, s2, s8
	s_lshl_b64 s[2:3], s[2:3], 2
	s_add_u32 s19, s0, s2
	s_addc_u32 s20, s1, s3
	s_mul_i32 s0, s13, s8
	s_mul_hi_u32 s1, s12, s8
	s_add_i32 s1, s1, s0
	s_mul_i32 s0, s12, s8
	s_lshl_b64 s[0:1], s[0:1], 2
	s_add_u32 s17, s6, s0
	s_addc_u32 s18, s7, s1
	s_and_saveexec_b64 s[0:1], vcc
	s_xor_b64 s[6:7], exec, s[0:1]
	s_cbranch_execz .LBB9_34
; %bb.2:
	s_load_dwordx4 s[0:3], s[4:5], 0x8
	s_load_dwordx4 s[12:15], s[4:5], 0x48
	s_mov_b32 s9, 0
	s_lshl_b64 s[4:5], s[8:9], 3
	v_mov_b32_e32 v3, 0
	s_waitcnt lgkmcnt(0)
	s_ashr_i32 s9, s2, 31
	s_add_u32 s0, s0, s4
	s_addc_u32 s1, s1, s5
	s_load_dwordx2 s[0:1], s[0:1], 0x0
	s_mov_b32 s8, s2
	s_lshl_b64 s[4:5], s[8:9], 2
	s_waitcnt lgkmcnt(0)
	s_add_u32 s2, s0, s4
	s_addc_u32 s15, s1, s5
	s_bitcmp1_b32 s14, 0
	s_cselect_b64 s[0:1], -1, 0
	s_xor_b64 s[0:1], s[0:1], -1
	s_mov_b64 s[4:5], -1
	s_cmpk_lg_i32 s12, 0xab
	s_cbranch_scc0 .LBB9_18
; %bb.3:
	v_cmp_le_u32_e32 vcc, v0, v2
	s_and_saveexec_b64 s[4:5], vcc
	s_xor_b64 s[4:5], exec, s[4:5]
	s_cbranch_execz .LBB9_5
; %bb.4:
	v_mad_u64_u32 v[4:5], s[8:9], v2, s16, 0
	s_ashr_i32 s8, s16, 31
	v_mov_b32_e32 v1, v5
	v_mad_u64_u32 v[5:6], s[8:9], v2, s8, v[1:2]
	v_mov_b32_e32 v1, 0
	v_mov_b32_e32 v6, s18
	v_lshlrev_b64 v[4:5], 2, v[4:5]
	v_add_co_u32_e32 v7, vcc, s17, v4
	v_addc_co_u32_e32 v6, vcc, v6, v5, vcc
	v_lshlrev_b64 v[4:5], 2, v[0:1]
	v_add_co_u32_e32 v4, vcc, v7, v4
	v_addc_co_u32_e32 v5, vcc, v6, v5, vcc
	global_store_dword v[4:5], v1, off
.LBB9_5:
	s_andn2_saveexec_b64 s[4:5], s[4:5]
	s_cbranch_execz .LBB9_17
; %bb.6:
	v_lshlrev_b64 v[4:5], 2, v[2:3]
	v_mov_b32_e32 v1, s20
	v_add_co_u32_e32 v4, vcc, s19, v4
	v_addc_co_u32_e32 v5, vcc, v1, v5, vcc
	global_load_dword v6, v[4:5], off
	s_cmpk_lg_i32 s13, 0xb5
	s_mov_b64 s[8:9], -1
	s_cbranch_scc0 .LBB9_12
; %bb.7:
	v_mov_b32_e32 v1, 0
	v_lshlrev_b64 v[4:5], 2, v[0:1]
	s_andn2_b64 vcc, exec, s[0:1]
	s_cbranch_vccnz .LBB9_9
; %bb.8:
	s_sub_i32 s8, s10, s11
	v_add_u32_e32 v9, s8, v2
	v_mad_u64_u32 v[7:8], s[8:9], v9, s3, 0
	s_ashr_i32 s8, s3, 31
	v_mov_b32_e32 v1, v8
	v_mad_u64_u32 v[8:9], s[8:9], v9, s8, v[1:2]
	v_mov_b32_e32 v1, s15
	v_lshlrev_b64 v[7:8], 2, v[7:8]
	v_add_co_u32_e32 v7, vcc, s2, v7
	v_addc_co_u32_e32 v1, vcc, v1, v8, vcc
	v_add_co_u32_e32 v7, vcc, v7, v4
	v_addc_co_u32_e32 v8, vcc, v1, v5, vcc
	flat_load_dword v10, v[7:8]
	v_mad_u64_u32 v[7:8], s[8:9], v2, s16, 0
	s_ashr_i32 s8, s16, 31
	v_mov_b32_e32 v1, v8
	v_mad_u64_u32 v[8:9], s[8:9], v2, s8, v[1:2]
	v_mov_b32_e32 v1, s18
	s_mov_b64 s[8:9], 0
	v_lshlrev_b64 v[7:8], 2, v[7:8]
	v_add_co_u32_e32 v7, vcc, s17, v7
	v_addc_co_u32_e32 v1, vcc, v1, v8, vcc
	v_add_co_u32_e32 v7, vcc, v7, v4
	v_addc_co_u32_e32 v8, vcc, v1, v5, vcc
	s_waitcnt vmcnt(0) lgkmcnt(0)
	v_mul_f32_e64 v1, v10, -v6
	global_store_dword v[7:8], v1, off
.LBB9_9:
	s_andn2_b64 vcc, exec, s[8:9]
	s_cbranch_vccnz .LBB9_11
; %bb.10:
	v_mad_u64_u32 v[7:8], s[8:9], v2, s16, 0
	s_ashr_i32 s8, s16, 31
	v_mov_b32_e32 v1, v8
	v_mad_u64_u32 v[8:9], s[8:9], v2, s8, v[1:2]
	s_sub_i32 s8, s10, s11
	v_add_u32_e32 v11, s8, v2
	v_mad_u64_u32 v[9:10], s[8:9], v11, s3, 0
	v_lshlrev_b64 v[7:8], 2, v[7:8]
	v_mov_b32_e32 v1, s18
	v_add_co_u32_e32 v12, vcc, s17, v7
	v_addc_co_u32_e32 v13, vcc, v1, v8, vcc
	s_ashr_i32 s8, s3, 31
	v_mov_b32_e32 v1, v10
	v_mad_u64_u32 v[7:8], s[8:9], v11, s8, v[1:2]
	v_add_co_u32_e32 v11, vcc, v12, v4
	v_mov_b32_e32 v10, v7
	v_lshlrev_b64 v[7:8], 2, v[9:10]
	v_addc_co_u32_e32 v12, vcc, v13, v5, vcc
	v_mov_b32_e32 v9, s15
	v_add_co_u32_e32 v7, vcc, s2, v7
	v_addc_co_u32_e32 v8, vcc, v9, v8, vcc
	v_add_co_u32_e32 v4, vcc, v7, v4
	v_addc_co_u32_e32 v5, vcc, v8, v5, vcc
	global_load_dword v1, v[11:12], off
	s_nop 0
	flat_load_dword v4, v[4:5]
	s_waitcnt vmcnt(0) lgkmcnt(0)
	v_add_f32_e32 v1, v1, v4
	v_mul_f32_e64 v1, v1, -v6
	global_store_dword v[11:12], v1, off
.LBB9_11:
	s_mov_b64 s[8:9], 0
.LBB9_12:
	s_andn2_b64 vcc, exec, s[8:9]
	s_cbranch_vccnz .LBB9_17
; %bb.13:
	s_andn2_b64 vcc, exec, s[0:1]
	s_mov_b64 s[8:9], -1
	s_cbranch_vccnz .LBB9_15
; %bb.14:
	v_mad_u64_u32 v[4:5], s[8:9], v0, s3, 0
	s_ashr_i32 s8, s3, 31
	v_mov_b32_e32 v9, 0
	v_mov_b32_e32 v1, v5
	v_mad_u64_u32 v[7:8], s[8:9], v0, s8, v[1:2]
	s_sub_i32 s8, s10, s11
	v_add_u32_e32 v8, s8, v2
	v_mov_b32_e32 v5, v7
	v_lshlrev_b64 v[4:5], 2, v[4:5]
	v_mov_b32_e32 v1, s15
	v_add_co_u32_e32 v7, vcc, s2, v4
	v_addc_co_u32_e32 v1, vcc, v1, v5, vcc
	v_lshlrev_b64 v[4:5], 2, v[8:9]
	v_mov_b32_e32 v11, s18
	v_add_co_u32_e32 v4, vcc, v7, v4
	v_addc_co_u32_e32 v5, vcc, v1, v5, vcc
	flat_load_dword v10, v[4:5]
	v_mad_u64_u32 v[4:5], s[8:9], v2, s16, 0
	s_ashr_i32 s8, s16, 31
	v_mov_b32_e32 v1, v5
	v_mad_u64_u32 v[7:8], s[8:9], v2, s8, v[1:2]
	v_mov_b32_e32 v1, v9
	v_lshlrev_b64 v[8:9], 2, v[0:1]
	v_mov_b32_e32 v5, v7
	v_lshlrev_b64 v[4:5], 2, v[4:5]
	s_mov_b64 s[8:9], 0
	v_add_co_u32_e32 v1, vcc, s17, v4
	v_addc_co_u32_e32 v5, vcc, v11, v5, vcc
	v_add_co_u32_e32 v4, vcc, v1, v8
	v_addc_co_u32_e32 v5, vcc, v5, v9, vcc
	s_waitcnt vmcnt(0) lgkmcnt(0)
	v_mul_f32_e64 v1, v10, -v6
	global_store_dword v[4:5], v1, off
.LBB9_15:
	s_andn2_b64 vcc, exec, s[8:9]
	s_cbranch_vccnz .LBB9_17
; %bb.16:
	v_mad_u64_u32 v[4:5], s[8:9], v2, s16, 0
	s_ashr_i32 s8, s16, 31
	v_mov_b32_e32 v1, v5
	v_mad_u64_u32 v[7:8], s[8:9], v2, s8, v[1:2]
	v_mov_b32_e32 v8, s18
	v_mov_b32_e32 v1, 0
	;; [unrolled: 1-line block ×3, first 2 shown]
	v_lshlrev_b64 v[4:5], 2, v[4:5]
	v_add_co_u32_e32 v9, vcc, s17, v4
	v_addc_co_u32_e32 v10, vcc, v8, v5, vcc
	v_mad_u64_u32 v[7:8], s[8:9], v0, s3, 0
	v_lshlrev_b64 v[4:5], 2, v[0:1]
	s_ashr_i32 s8, s3, 31
	v_add_co_u32_e32 v4, vcc, v9, v4
	v_mad_u64_u32 v[8:9], s[8:9], v0, s8, v[8:9]
	v_addc_co_u32_e32 v5, vcc, v10, v5, vcc
	v_lshlrev_b64 v[7:8], 2, v[7:8]
	s_sub_i32 s8, s10, s11
	v_add_u32_e32 v9, s8, v2
	v_mov_b32_e32 v10, v1
	v_mov_b32_e32 v1, s15
	v_add_co_u32_e32 v12, vcc, s2, v7
	v_addc_co_u32_e32 v1, vcc, v1, v8, vcc
	v_lshlrev_b64 v[7:8], 2, v[9:10]
	global_load_dword v11, v[4:5], off
	v_add_co_u32_e32 v7, vcc, v12, v7
	v_addc_co_u32_e32 v8, vcc, v1, v8, vcc
	flat_load_dword v1, v[7:8]
	s_waitcnt vmcnt(0) lgkmcnt(0)
	v_add_f32_e32 v1, v11, v1
	v_mul_f32_e64 v1, v1, -v6
	global_store_dword v[4:5], v1, off
.LBB9_17:
	s_or_b64 exec, exec, s[4:5]
	s_mov_b64 s[4:5], 0
.LBB9_18:
	s_andn2_b64 vcc, exec, s[4:5]
	s_cbranch_vccnz .LBB9_34
; %bb.19:
	v_cmp_ge_u32_e32 vcc, v0, v2
	s_and_saveexec_b64 s[4:5], vcc
	s_xor_b64 s[4:5], exec, s[4:5]
	s_cbranch_execz .LBB9_21
; %bb.20:
	v_mad_u64_u32 v[3:4], s[8:9], v2, s16, 0
	s_ashr_i32 s8, s16, 31
	v_mov_b32_e32 v1, v4
	v_mad_u64_u32 v[4:5], s[8:9], v2, s8, v[1:2]
	v_mov_b32_e32 v1, 0
	v_mov_b32_e32 v5, s18
	v_lshlrev_b64 v[2:3], 2, v[3:4]
	v_add_co_u32_e32 v4, vcc, s17, v2
	v_addc_co_u32_e32 v5, vcc, v5, v3, vcc
	v_lshlrev_b64 v[2:3], 2, v[0:1]
                                        ; implicit-def: $vgpr0
	v_add_co_u32_e32 v2, vcc, v4, v2
	v_addc_co_u32_e32 v3, vcc, v5, v3, vcc
	global_store_dword v[2:3], v1, off
                                        ; implicit-def: $vgpr2_vgpr3
.LBB9_21:
	s_andn2_saveexec_b64 s[4:5], s[4:5]
	s_cbranch_execz .LBB9_33
; %bb.22:
	v_lshlrev_b64 v[3:4], 2, v[2:3]
	v_mov_b32_e32 v1, s20
	v_add_co_u32_e32 v5, vcc, s19, v3
	s_waitcnt vmcnt(0)
	v_addc_co_u32_e32 v6, vcc, v1, v4, vcc
	global_load_dword v7, v[5:6], off
	v_cndmask_b32_e64 v5, 0, 1, s[0:1]
	s_cmpk_lg_i32 s13, 0xb5
	v_mov_b32_e32 v1, 0
	s_mov_b64 s[8:9], -1
	v_cmp_ne_u32_e64 s[0:1], 1, v5
	s_cbranch_scc0 .LBB9_28
; %bb.23:
	s_and_b64 vcc, exec, s[0:1]
	s_cbranch_vccnz .LBB9_25
; %bb.24:
	v_mad_u64_u32 v[5:6], s[8:9], v2, s3, 0
	s_ashr_i32 s8, s3, 31
	s_waitcnt vmcnt(0)
	v_mad_u64_u32 v[8:9], s[8:9], v2, s8, v[6:7]
	v_mov_b32_e32 v9, s15
	v_mov_b32_e32 v6, v8
	v_lshlrev_b64 v[5:6], 2, v[5:6]
	v_add_co_u32_e32 v8, vcc, s2, v5
	v_addc_co_u32_e32 v9, vcc, v9, v6, vcc
	v_lshlrev_b64 v[5:6], 2, v[0:1]
	v_add_co_u32_e32 v8, vcc, v8, v5
	v_addc_co_u32_e32 v9, vcc, v9, v6, vcc
	flat_load_dword v11, v[8:9]
	v_mad_u64_u32 v[8:9], s[8:9], v2, s16, 0
	s_ashr_i32 s8, s16, 31
	v_mad_u64_u32 v[9:10], s[8:9], v2, s8, v[9:10]
	v_mov_b32_e32 v10, s18
	s_mov_b64 s[8:9], 0
	v_lshlrev_b64 v[8:9], 2, v[8:9]
	v_add_co_u32_e32 v8, vcc, s17, v8
	v_addc_co_u32_e32 v9, vcc, v10, v9, vcc
	v_add_co_u32_e32 v5, vcc, v8, v5
	v_addc_co_u32_e32 v6, vcc, v9, v6, vcc
	s_waitcnt vmcnt(0) lgkmcnt(0)
	v_mul_f32_e64 v8, v11, -v7
	global_store_dword v[5:6], v8, off
.LBB9_25:
	s_andn2_b64 vcc, exec, s[8:9]
	s_cbranch_vccnz .LBB9_27
; %bb.26:
	v_mad_u64_u32 v[5:6], s[8:9], v2, s16, 0
	s_ashr_i32 s8, s16, 31
	v_mov_b32_e32 v11, s18
	s_waitcnt vmcnt(0)
	v_mad_u64_u32 v[8:9], s[8:9], v2, s8, v[6:7]
	v_mad_u64_u32 v[9:10], s[8:9], v2, s3, 0
	v_mov_b32_e32 v6, v8
	v_lshlrev_b64 v[5:6], 2, v[5:6]
	s_ashr_i32 s8, s3, 31
	v_add_co_u32_e32 v12, vcc, s17, v5
	v_mov_b32_e32 v8, v10
	v_addc_co_u32_e32 v13, vcc, v11, v6, vcc
	v_mad_u64_u32 v[10:11], s[8:9], v2, s8, v[8:9]
	v_lshlrev_b64 v[5:6], 2, v[0:1]
	v_add_co_u32_e32 v11, vcc, v12, v5
	v_lshlrev_b64 v[8:9], 2, v[9:10]
	v_addc_co_u32_e32 v12, vcc, v13, v6, vcc
	v_mov_b32_e32 v10, s15
	v_add_co_u32_e32 v8, vcc, s2, v8
	v_addc_co_u32_e32 v9, vcc, v10, v9, vcc
	v_add_co_u32_e32 v5, vcc, v8, v5
	v_addc_co_u32_e32 v6, vcc, v9, v6, vcc
	global_load_dword v13, v[11:12], off
	s_nop 0
	flat_load_dword v5, v[5:6]
	s_waitcnt vmcnt(0) lgkmcnt(0)
	v_add_f32_e32 v5, v13, v5
	v_mul_f32_e64 v5, v5, -v7
	global_store_dword v[11:12], v5, off
.LBB9_27:
	s_mov_b64 s[8:9], 0
.LBB9_28:
	s_andn2_b64 vcc, exec, s[8:9]
	s_cbranch_vccnz .LBB9_33
; %bb.29:
	v_lshlrev_b64 v[5:6], 2, v[0:1]
	s_and_b64 vcc, exec, s[0:1]
	s_mov_b64 s[0:1], -1
	s_cbranch_vccnz .LBB9_31
; %bb.30:
	v_mad_u64_u32 v[8:9], s[0:1], v0, s3, 0
	s_ashr_i32 s0, s3, 31
	v_mov_b32_e32 v1, v9
	v_mad_u64_u32 v[9:10], s[0:1], v0, s0, v[1:2]
	v_mov_b32_e32 v1, s15
	v_lshlrev_b64 v[8:9], 2, v[8:9]
	v_add_co_u32_e32 v8, vcc, s2, v8
	v_addc_co_u32_e32 v1, vcc, v1, v9, vcc
	v_add_co_u32_e32 v8, vcc, v8, v3
	v_addc_co_u32_e32 v9, vcc, v1, v4, vcc
	flat_load_dword v11, v[8:9]
	v_mad_u64_u32 v[8:9], s[0:1], v2, s16, 0
	s_ashr_i32 s0, s16, 31
	v_mov_b32_e32 v1, v9
	v_mad_u64_u32 v[9:10], s[0:1], v2, s0, v[1:2]
	v_mov_b32_e32 v1, s18
	s_mov_b64 s[0:1], 0
	v_lshlrev_b64 v[8:9], 2, v[8:9]
	v_add_co_u32_e32 v8, vcc, s17, v8
	v_addc_co_u32_e32 v1, vcc, v1, v9, vcc
	v_add_co_u32_e32 v8, vcc, v8, v5
	v_addc_co_u32_e32 v9, vcc, v1, v6, vcc
	s_waitcnt vmcnt(0) lgkmcnt(0)
	v_mul_f32_e64 v1, v11, -v7
	global_store_dword v[8:9], v1, off
.LBB9_31:
	s_andn2_b64 vcc, exec, s[0:1]
	s_cbranch_vccnz .LBB9_33
; %bb.32:
	v_mad_u64_u32 v[8:9], s[0:1], v2, s16, 0
	s_ashr_i32 s0, s16, 31
	v_mov_b32_e32 v12, s18
	v_mov_b32_e32 v1, v9
	v_mad_u64_u32 v[1:2], s[0:1], v2, s0, v[1:2]
	v_mad_u64_u32 v[10:11], s[0:1], v0, s3, 0
	v_mov_b32_e32 v9, v1
	v_lshlrev_b64 v[1:2], 2, v[8:9]
	s_ashr_i32 s0, s3, 31
	v_add_co_u32_e32 v8, vcc, s17, v1
	v_addc_co_u32_e32 v2, vcc, v12, v2, vcc
	v_mov_b32_e32 v1, v11
	v_mad_u64_u32 v[0:1], s[0:1], v0, s0, v[1:2]
	v_add_co_u32_e32 v1, vcc, v8, v5
	v_mov_b32_e32 v11, v0
	v_addc_co_u32_e32 v2, vcc, v2, v6, vcc
	v_lshlrev_b64 v[5:6], 2, v[10:11]
	v_mov_b32_e32 v0, s15
	v_add_co_u32_e32 v5, vcc, s2, v5
	v_addc_co_u32_e32 v0, vcc, v0, v6, vcc
	v_add_co_u32_e32 v3, vcc, v5, v3
	v_addc_co_u32_e32 v4, vcc, v0, v4, vcc
	global_load_dword v8, v[1:2], off
	flat_load_dword v0, v[3:4]
	s_waitcnt vmcnt(0) lgkmcnt(0)
	v_add_f32_e32 v0, v8, v0
	v_mul_f32_e64 v0, v0, -v7
	global_store_dword v[1:2], v0, off
.LBB9_33:
	s_or_b64 exec, exec, s[4:5]
                                        ; implicit-def: $vgpr2
.LBB9_34:
	s_andn2_saveexec_b64 s[0:1], s[6:7]
	s_cbranch_execz .LBB9_36
; %bb.35:
	v_mov_b32_e32 v3, 0
	v_lshlrev_b64 v[0:1], 2, v[2:3]
	v_mov_b32_e32 v4, s20
	v_add_co_u32_e32 v3, vcc, s19, v0
	v_addc_co_u32_e32 v4, vcc, v4, v1, vcc
	global_load_dword v6, v[3:4], off
	v_mad_u64_u32 v[3:4], s[0:1], v2, s16, 0
	s_ashr_i32 s0, s16, 31
	v_mad_u64_u32 v[4:5], s[0:1], v2, s0, v[4:5]
	v_lshlrev_b64 v[2:3], 2, v[3:4]
	v_mov_b32_e32 v4, s18
	v_add_co_u32_e32 v2, vcc, s17, v2
	v_addc_co_u32_e32 v3, vcc, v4, v3, vcc
	v_add_co_u32_e32 v0, vcc, v2, v0
	v_addc_co_u32_e32 v1, vcc, v3, v1, vcc
	s_waitcnt vmcnt(0)
	global_store_dword v[0:1], v6, off
.LBB9_36:
	s_endpgm
	.section	.rodata,"a",@progbits
	.p2align	6, 0x0
	.amdhsa_kernel _ZN9rocsolver6v33100L14set_triangularIfPKPfTnNSt9enable_ifIXnt18rocblas_is_complexIT_EEiE4typeELi0EEEviiT0_iilPS6_lSA_il15rocblas_direct_15rocblas_storev_b
		.amdhsa_group_segment_fixed_size 0
		.amdhsa_private_segment_fixed_size 0
		.amdhsa_kernarg_size 344
		.amdhsa_user_sgpr_count 6
		.amdhsa_user_sgpr_private_segment_buffer 1
		.amdhsa_user_sgpr_dispatch_ptr 0
		.amdhsa_user_sgpr_queue_ptr 0
		.amdhsa_user_sgpr_kernarg_segment_ptr 1
		.amdhsa_user_sgpr_dispatch_id 0
		.amdhsa_user_sgpr_flat_scratch_init 0
		.amdhsa_user_sgpr_private_segment_size 0
		.amdhsa_uses_dynamic_stack 0
		.amdhsa_system_sgpr_private_segment_wavefront_offset 0
		.amdhsa_system_sgpr_workgroup_id_x 1
		.amdhsa_system_sgpr_workgroup_id_y 1
		.amdhsa_system_sgpr_workgroup_id_z 1
		.amdhsa_system_sgpr_workgroup_info 0
		.amdhsa_system_vgpr_workitem_id 1
		.amdhsa_next_free_vgpr 14
		.amdhsa_next_free_sgpr 21
		.amdhsa_reserve_vcc 1
		.amdhsa_reserve_flat_scratch 0
		.amdhsa_float_round_mode_32 0
		.amdhsa_float_round_mode_16_64 0
		.amdhsa_float_denorm_mode_32 3
		.amdhsa_float_denorm_mode_16_64 3
		.amdhsa_dx10_clamp 1
		.amdhsa_ieee_mode 1
		.amdhsa_fp16_overflow 0
		.amdhsa_exception_fp_ieee_invalid_op 0
		.amdhsa_exception_fp_denorm_src 0
		.amdhsa_exception_fp_ieee_div_zero 0
		.amdhsa_exception_fp_ieee_overflow 0
		.amdhsa_exception_fp_ieee_underflow 0
		.amdhsa_exception_fp_ieee_inexact 0
		.amdhsa_exception_int_div_zero 0
	.end_amdhsa_kernel
	.section	.text._ZN9rocsolver6v33100L14set_triangularIfPKPfTnNSt9enable_ifIXnt18rocblas_is_complexIT_EEiE4typeELi0EEEviiT0_iilPS6_lSA_il15rocblas_direct_15rocblas_storev_b,"axG",@progbits,_ZN9rocsolver6v33100L14set_triangularIfPKPfTnNSt9enable_ifIXnt18rocblas_is_complexIT_EEiE4typeELi0EEEviiT0_iilPS6_lSA_il15rocblas_direct_15rocblas_storev_b,comdat
.Lfunc_end9:
	.size	_ZN9rocsolver6v33100L14set_triangularIfPKPfTnNSt9enable_ifIXnt18rocblas_is_complexIT_EEiE4typeELi0EEEviiT0_iilPS6_lSA_il15rocblas_direct_15rocblas_storev_b, .Lfunc_end9-_ZN9rocsolver6v33100L14set_triangularIfPKPfTnNSt9enable_ifIXnt18rocblas_is_complexIT_EEiE4typeELi0EEEviiT0_iilPS6_lSA_il15rocblas_direct_15rocblas_storev_b
                                        ; -- End function
	.set _ZN9rocsolver6v33100L14set_triangularIfPKPfTnNSt9enable_ifIXnt18rocblas_is_complexIT_EEiE4typeELi0EEEviiT0_iilPS6_lSA_il15rocblas_direct_15rocblas_storev_b.num_vgpr, 14
	.set _ZN9rocsolver6v33100L14set_triangularIfPKPfTnNSt9enable_ifIXnt18rocblas_is_complexIT_EEiE4typeELi0EEEviiT0_iilPS6_lSA_il15rocblas_direct_15rocblas_storev_b.num_agpr, 0
	.set _ZN9rocsolver6v33100L14set_triangularIfPKPfTnNSt9enable_ifIXnt18rocblas_is_complexIT_EEiE4typeELi0EEEviiT0_iilPS6_lSA_il15rocblas_direct_15rocblas_storev_b.numbered_sgpr, 21
	.set _ZN9rocsolver6v33100L14set_triangularIfPKPfTnNSt9enable_ifIXnt18rocblas_is_complexIT_EEiE4typeELi0EEEviiT0_iilPS6_lSA_il15rocblas_direct_15rocblas_storev_b.num_named_barrier, 0
	.set _ZN9rocsolver6v33100L14set_triangularIfPKPfTnNSt9enable_ifIXnt18rocblas_is_complexIT_EEiE4typeELi0EEEviiT0_iilPS6_lSA_il15rocblas_direct_15rocblas_storev_b.private_seg_size, 0
	.set _ZN9rocsolver6v33100L14set_triangularIfPKPfTnNSt9enable_ifIXnt18rocblas_is_complexIT_EEiE4typeELi0EEEviiT0_iilPS6_lSA_il15rocblas_direct_15rocblas_storev_b.uses_vcc, 1
	.set _ZN9rocsolver6v33100L14set_triangularIfPKPfTnNSt9enable_ifIXnt18rocblas_is_complexIT_EEiE4typeELi0EEEviiT0_iilPS6_lSA_il15rocblas_direct_15rocblas_storev_b.uses_flat_scratch, 0
	.set _ZN9rocsolver6v33100L14set_triangularIfPKPfTnNSt9enable_ifIXnt18rocblas_is_complexIT_EEiE4typeELi0EEEviiT0_iilPS6_lSA_il15rocblas_direct_15rocblas_storev_b.has_dyn_sized_stack, 0
	.set _ZN9rocsolver6v33100L14set_triangularIfPKPfTnNSt9enable_ifIXnt18rocblas_is_complexIT_EEiE4typeELi0EEEviiT0_iilPS6_lSA_il15rocblas_direct_15rocblas_storev_b.has_recursion, 0
	.set _ZN9rocsolver6v33100L14set_triangularIfPKPfTnNSt9enable_ifIXnt18rocblas_is_complexIT_EEiE4typeELi0EEEviiT0_iilPS6_lSA_il15rocblas_direct_15rocblas_storev_b.has_indirect_call, 0
	.section	.AMDGPU.csdata,"",@progbits
; Kernel info:
; codeLenInByte = 2052
; TotalNumSgprs: 25
; NumVgprs: 14
; ScratchSize: 0
; MemoryBound: 0
; FloatMode: 240
; IeeeMode: 1
; LDSByteSize: 0 bytes/workgroup (compile time only)
; SGPRBlocks: 3
; VGPRBlocks: 3
; NumSGPRsForWavesPerEU: 25
; NumVGPRsForWavesPerEU: 14
; Occupancy: 10
; WaveLimiterHint : 1
; COMPUTE_PGM_RSRC2:SCRATCH_EN: 0
; COMPUTE_PGM_RSRC2:USER_SGPR: 6
; COMPUTE_PGM_RSRC2:TRAP_HANDLER: 0
; COMPUTE_PGM_RSRC2:TGID_X_EN: 1
; COMPUTE_PGM_RSRC2:TGID_Y_EN: 1
; COMPUTE_PGM_RSRC2:TGID_Z_EN: 1
; COMPUTE_PGM_RSRC2:TIDIG_COMP_CNT: 1
	.section	.text._ZN9rocsolver6v33100L7set_tauIfEEviPT_l,"axG",@progbits,_ZN9rocsolver6v33100L7set_tauIfEEviPT_l,comdat
	.globl	_ZN9rocsolver6v33100L7set_tauIfEEviPT_l ; -- Begin function _ZN9rocsolver6v33100L7set_tauIfEEviPT_l
	.p2align	8
	.type	_ZN9rocsolver6v33100L7set_tauIfEEviPT_l,@function
_ZN9rocsolver6v33100L7set_tauIfEEviPT_l: ; @_ZN9rocsolver6v33100L7set_tauIfEEviPT_l
; %bb.0:
	s_load_dword s0, s[4:5], 0x24
	s_load_dword s1, s[4:5], 0x0
	s_waitcnt lgkmcnt(0)
	s_and_b32 s0, s0, 0xffff
	s_mul_i32 s6, s6, s0
	v_add_u32_e32 v0, s6, v0
	v_cmp_gt_u32_e32 vcc, s1, v0
	s_and_saveexec_b64 s[0:1], vcc
	s_cbranch_execz .LBB10_2
; %bb.1:
	s_load_dwordx4 s[0:3], s[4:5], 0x8
	v_mov_b32_e32 v1, 0
	v_lshlrev_b64 v[0:1], 2, v[0:1]
	s_waitcnt lgkmcnt(0)
	s_mul_i32 s3, s3, s7
	s_mul_hi_u32 s4, s2, s7
	s_mul_i32 s2, s2, s7
	s_add_i32 s3, s4, s3
	s_lshl_b64 s[2:3], s[2:3], 2
	s_add_u32 s0, s0, s2
	s_addc_u32 s1, s1, s3
	v_mov_b32_e32 v2, s1
	v_add_co_u32_e32 v0, vcc, s0, v0
	v_addc_co_u32_e32 v1, vcc, v2, v1, vcc
	global_load_dword v2, v[0:1], off
	s_waitcnt vmcnt(0)
	v_xor_b32_e32 v2, 0x80000000, v2
	global_store_dword v[0:1], v2, off
.LBB10_2:
	s_endpgm
	.section	.rodata,"a",@progbits
	.p2align	6, 0x0
	.amdhsa_kernel _ZN9rocsolver6v33100L7set_tauIfEEviPT_l
		.amdhsa_group_segment_fixed_size 0
		.amdhsa_private_segment_fixed_size 0
		.amdhsa_kernarg_size 280
		.amdhsa_user_sgpr_count 6
		.amdhsa_user_sgpr_private_segment_buffer 1
		.amdhsa_user_sgpr_dispatch_ptr 0
		.amdhsa_user_sgpr_queue_ptr 0
		.amdhsa_user_sgpr_kernarg_segment_ptr 1
		.amdhsa_user_sgpr_dispatch_id 0
		.amdhsa_user_sgpr_flat_scratch_init 0
		.amdhsa_user_sgpr_private_segment_size 0
		.amdhsa_uses_dynamic_stack 0
		.amdhsa_system_sgpr_private_segment_wavefront_offset 0
		.amdhsa_system_sgpr_workgroup_id_x 1
		.amdhsa_system_sgpr_workgroup_id_y 1
		.amdhsa_system_sgpr_workgroup_id_z 0
		.amdhsa_system_sgpr_workgroup_info 0
		.amdhsa_system_vgpr_workitem_id 0
		.amdhsa_next_free_vgpr 3
		.amdhsa_next_free_sgpr 8
		.amdhsa_reserve_vcc 1
		.amdhsa_reserve_flat_scratch 0
		.amdhsa_float_round_mode_32 0
		.amdhsa_float_round_mode_16_64 0
		.amdhsa_float_denorm_mode_32 3
		.amdhsa_float_denorm_mode_16_64 3
		.amdhsa_dx10_clamp 1
		.amdhsa_ieee_mode 1
		.amdhsa_fp16_overflow 0
		.amdhsa_exception_fp_ieee_invalid_op 0
		.amdhsa_exception_fp_denorm_src 0
		.amdhsa_exception_fp_ieee_div_zero 0
		.amdhsa_exception_fp_ieee_overflow 0
		.amdhsa_exception_fp_ieee_underflow 0
		.amdhsa_exception_fp_ieee_inexact 0
		.amdhsa_exception_int_div_zero 0
	.end_amdhsa_kernel
	.section	.text._ZN9rocsolver6v33100L7set_tauIfEEviPT_l,"axG",@progbits,_ZN9rocsolver6v33100L7set_tauIfEEviPT_l,comdat
.Lfunc_end10:
	.size	_ZN9rocsolver6v33100L7set_tauIfEEviPT_l, .Lfunc_end10-_ZN9rocsolver6v33100L7set_tauIfEEviPT_l
                                        ; -- End function
	.set _ZN9rocsolver6v33100L7set_tauIfEEviPT_l.num_vgpr, 3
	.set _ZN9rocsolver6v33100L7set_tauIfEEviPT_l.num_agpr, 0
	.set _ZN9rocsolver6v33100L7set_tauIfEEviPT_l.numbered_sgpr, 8
	.set _ZN9rocsolver6v33100L7set_tauIfEEviPT_l.num_named_barrier, 0
	.set _ZN9rocsolver6v33100L7set_tauIfEEviPT_l.private_seg_size, 0
	.set _ZN9rocsolver6v33100L7set_tauIfEEviPT_l.uses_vcc, 1
	.set _ZN9rocsolver6v33100L7set_tauIfEEviPT_l.uses_flat_scratch, 0
	.set _ZN9rocsolver6v33100L7set_tauIfEEviPT_l.has_dyn_sized_stack, 0
	.set _ZN9rocsolver6v33100L7set_tauIfEEviPT_l.has_recursion, 0
	.set _ZN9rocsolver6v33100L7set_tauIfEEviPT_l.has_indirect_call, 0
	.section	.AMDGPU.csdata,"",@progbits
; Kernel info:
; codeLenInByte = 144
; TotalNumSgprs: 12
; NumVgprs: 3
; ScratchSize: 0
; MemoryBound: 0
; FloatMode: 240
; IeeeMode: 1
; LDSByteSize: 0 bytes/workgroup (compile time only)
; SGPRBlocks: 1
; VGPRBlocks: 0
; NumSGPRsForWavesPerEU: 12
; NumVGPRsForWavesPerEU: 3
; Occupancy: 10
; WaveLimiterHint : 0
; COMPUTE_PGM_RSRC2:SCRATCH_EN: 0
; COMPUTE_PGM_RSRC2:USER_SGPR: 6
; COMPUTE_PGM_RSRC2:TRAP_HANDLER: 0
; COMPUTE_PGM_RSRC2:TGID_X_EN: 1
; COMPUTE_PGM_RSRC2:TGID_Y_EN: 1
; COMPUTE_PGM_RSRC2:TGID_Z_EN: 0
; COMPUTE_PGM_RSRC2:TIDIG_COMP_CNT: 0
	.section	.text._ZN9rocsolver6v33100L20larft_kernel_forwardIfPKPfEEv15rocblas_storev_iiT0_iilPT_lS8_il,"axG",@progbits,_ZN9rocsolver6v33100L20larft_kernel_forwardIfPKPfEEv15rocblas_storev_iiT0_iilPT_lS8_il,comdat
	.globl	_ZN9rocsolver6v33100L20larft_kernel_forwardIfPKPfEEv15rocblas_storev_iiT0_iilPT_lS8_il ; -- Begin function _ZN9rocsolver6v33100L20larft_kernel_forwardIfPKPfEEv15rocblas_storev_iiT0_iilPT_lS8_il
	.p2align	8
	.type	_ZN9rocsolver6v33100L20larft_kernel_forwardIfPKPfEEv15rocblas_storev_iiT0_iilPT_lS8_il,@function
_ZN9rocsolver6v33100L20larft_kernel_forwardIfPKPfEEv15rocblas_storev_iiT0_iilPT_lS8_il: ; @_ZN9rocsolver6v33100L20larft_kernel_forwardIfPKPfEEv15rocblas_storev_iiT0_iilPT_lS8_il
; %bb.0:
	s_mov_b32 s2, s7
	s_load_dword s30, s[4:5], 0x40
	s_load_dwordx2 s[0:1], s[4:5], 0x48
	s_load_dword s3, s[4:5], 0x5c
	s_load_dwordx4 s[8:11], s[4:5], 0x0
	s_load_dwordx2 s[6:7], s[4:5], 0x10
	s_load_dwordx4 s[12:15], s[4:5], 0x28
	s_load_dwordx2 s[16:17], s[4:5], 0x38
	s_waitcnt lgkmcnt(0)
	s_and_b32 s11, s3, 0xffff
	s_ashr_i32 s3, s2, 31
	s_lshl_b64 s[18:19], s[2:3], 3
	s_add_u32 s6, s6, s18
	s_addc_u32 s7, s7, s19
	s_mul_hi_u32 s18, s0, s2
	s_mul_i32 s19, s0, s3
	s_load_dwordx2 s[6:7], s[6:7], 0x0
	s_add_i32 s18, s18, s19
	s_mul_i32 s1, s1, s2
	s_add_i32 s1, s18, s1
	s_mul_i32 s0, s0, s2
	s_lshl_b64 s[0:1], s[0:1], 2
	s_add_u32 s31, s16, s0
	s_addc_u32 s33, s17, s1
	v_cmp_gt_i32_e64 s[0:1], s10, v0
	v_lshlrev_b32_e32 v6, 2, v0
	s_and_saveexec_b64 s[16:17], s[0:1]
	s_cbranch_execz .LBB11_5
; %bb.1:
	v_add_u32_e32 v1, 4, v6
	v_mul_lo_u32 v1, s10, v1
	s_lshl_b32 s22, s10, 2
	s_add_i32 s23, s22, 4
	s_add_i32 s24, s30, 1
	v_add3_u32 v4, v1, v6, 0
	v_mad_u64_u32 v[1:2], s[18:19], v0, s30, v[0:1]
	s_mul_i32 s23, s23, s11
	s_mul_i32 s24, s24, s11
	s_mov_b64 s[18:19], 0
	v_mov_b32_e32 v5, s33
	v_mov_b32_e32 v7, v0
.LBB11_2:                               ; =>This Loop Header: Depth=1
                                        ;     Child Loop BB11_3 Depth 2
	s_mov_b64 s[20:21], 0
	v_mov_b32_e32 v2, v1
	v_mov_b32_e32 v8, v4
	;; [unrolled: 1-line block ×3, first 2 shown]
.LBB11_3:                               ;   Parent Loop BB11_2 Depth=1
                                        ; =>  This Inner Loop Header: Depth=2
	v_ashrrev_i32_e32 v3, 31, v2
	v_lshlrev_b64 v[10:11], 2, v[2:3]
	v_add_u32_e32 v9, 1, v9
	v_add_co_u32_e32 v10, vcc, s31, v10
	v_addc_co_u32_e32 v11, vcc, v5, v11, vcc
	global_load_dword v3, v[10:11], off
	v_cmp_le_i32_e32 vcc, s10, v9
	v_add_u32_e32 v2, s30, v2
	s_or_b64 s[20:21], vcc, s[20:21]
	s_waitcnt vmcnt(0)
	ds_write_b32 v8, v3
	v_add_u32_e32 v8, s22, v8
	s_andn2_b64 exec, exec, s[20:21]
	s_cbranch_execnz .LBB11_3
; %bb.4:                                ;   in Loop: Header=BB11_2 Depth=1
	s_or_b64 exec, exec, s[20:21]
	v_add_u32_e32 v7, s11, v7
	v_cmp_le_i32_e32 vcc, s10, v7
	v_add_u32_e32 v4, s23, v4
	s_or_b64 s[18:19], vcc, s[18:19]
	v_add_u32_e32 v1, s24, v1
	s_andn2_b64 exec, exec, s[18:19]
	s_cbranch_execnz .LBB11_2
.LBB11_5:
	s_or_b64 exec, exec, s[16:17]
	s_cmp_lt_i32 s10, 2
	s_waitcnt lgkmcnt(0)
	s_barrier
	s_cbranch_scc1 .LBB11_30
; %bb.6:
	s_load_dwordx2 s[4:5], s[4:5], 0x18
	s_mul_i32 s3, s14, s3
	s_mul_hi_u32 s16, s14, s2
	s_add_i32 s3, s16, s3
	v_add_u32_e32 v3, 4, v6
	s_waitcnt lgkmcnt(0)
	s_ashr_i32 s17, s4, 31
	s_mov_b32 s16, s4
	s_mul_i32 s4, s15, s2
	s_add_i32 s3, s3, s4
	s_mul_i32 s2, s14, s2
	s_lshl_b64 s[2:3], s[2:3], 2
	s_add_u32 s4, s12, s2
	s_addc_u32 s34, s13, s3
	s_lshl_b32 s35, s10, 2
	s_add_i32 s36, s35, 0
	s_cmpk_lg_i32 s8, 0xb5
	s_cselect_b64 s[14:15], -1, 0
	s_add_i32 s8, s9, -2
	s_lshl_b64 s[2:3], s[16:17], 2
	s_add_u32 s37, s2, 4
	s_addc_u32 s38, s3, 0
	s_ashr_i32 s19, s5, 31
	s_mov_b32 s18, s5
	s_lshl_b32 s16, s5, 1
	s_lshl_b64 s[18:19], s[18:19], 2
	s_lshl_b32 s39, s11, 2
	v_add_co_u32_e32 v1, vcc, s2, v6
	s_add_u32 s2, s6, s2
	v_mul_lo_u32 v3, s10, v3
	v_mov_b32_e32 v2, s3
	s_addc_u32 s3, s7, s3
	v_mul_lo_u32 v7, v0, s5
	s_add_u32 s40, s2, 8
	s_addc_u32 s41, s3, 0
	s_add_i32 s43, s35, 4
	s_mov_b32 s13, 0
	s_mov_b32 s12, 1
	v_addc_co_u32_e32 v2, vcc, 0, v2, vcc
	s_mul_i32 s42, s5, s11
	v_add3_u32 v8, v3, v6, 0
	s_mul_i32 s43, s43, s11
	v_add_u32_e32 v9, 0, v6
	s_mov_b32 s20, s5
	s_branch .LBB11_8
.LBB11_7:                               ;   in Loop: Header=BB11_8 Depth=1
	s_or_b64 exec, exec, s[2:3]
	s_add_i32 s12, s12, 1
	s_add_i32 s8, s8, -1
	s_add_u32 s37, s37, 4
	s_addc_u32 s38, s38, 0
	s_add_i32 s16, s16, s5
	s_add_u32 s40, s40, 4
	s_addc_u32 s41, s41, 0
	s_add_i32 s20, s20, s5
	s_cmp_eq_u32 s12, s10
	s_waitcnt lgkmcnt(0)
	s_barrier
	s_cbranch_scc1 .LBB11_30
.LBB11_8:                               ; =>This Loop Header: Depth=1
                                        ;     Child Loop BB11_12 Depth 2
                                        ;       Child Loop BB11_14 Depth 3
                                        ;     Child Loop BB11_21 Depth 2
                                        ;       Child Loop BB11_23 Depth 3
                                        ;     Child Loop BB11_27 Depth 2
                                        ;       Child Loop BB11_28 Depth 3
	s_not_b32 s2, s12
	s_add_i32 s45, s9, s2
	s_mul_i32 s2, s12, s10
	s_lshl_b32 s2, s2, 2
	s_add_i32 s44, s36, s2
	s_mov_b64 s[22:23], -1
	s_and_b64 vcc, exec, s[14:15]
	v_cmp_gt_u32_e64 s[2:3], s12, v0
	s_cbranch_vccz .LBB11_16
; %bb.9:                                ;   in Loop: Header=BB11_8 Depth=1
	s_and_saveexec_b64 s[22:23], s[2:3]
	s_cbranch_execz .LBB11_15
; %bb.10:                               ;   in Loop: Header=BB11_8 Depth=1
	s_ashr_i32 s17, s16, 31
	s_lshl_b64 s[2:3], s[16:17], 2
	s_add_u32 s24, s6, s2
	s_addc_u32 s25, s7, s3
	s_cmp_gt_i32 s45, 0
	s_cselect_b64 s[2:3], -1, 0
	s_lshl_b64 s[26:27], s[12:13], 2
	s_add_u32 s26, s4, s26
	s_addc_u32 s27, s34, s27
	s_load_dword s17, s[26:27], 0x0
	v_cndmask_b32_e64 v3, 0, 1, s[2:3]
	v_cmp_ne_u32_e64 s[2:3], 1, v3
	v_mov_b32_e32 v4, v2
	s_mov_b64 s[26:27], 0
	v_mov_b32_e32 v3, v1
	v_mov_b32_e32 v5, v0
	s_branch .LBB11_12
.LBB11_11:                              ;   in Loop: Header=BB11_12 Depth=2
	v_lshlrev_b32_e32 v11, 2, v5
	v_add_u32_e32 v12, s44, v11
	ds_read_b32 v12, v12
	v_add_u32_e32 v5, s11, v5
	v_cmp_le_u32_e32 vcc, s12, v5
	s_or_b64 s[26:27], vcc, s[26:27]
	v_add_co_u32_e32 v3, vcc, s39, v3
	v_add_u32_e32 v11, 0, v11
	s_waitcnt lgkmcnt(0)
	v_fmac_f32_e32 v12, s17, v10
	v_addc_co_u32_e32 v4, vcc, 0, v4, vcc
	ds_write_b32 v11, v12
	s_andn2_b64 exec, exec, s[26:27]
	s_cbranch_execz .LBB11_15
.LBB11_12:                              ;   Parent Loop BB11_8 Depth=1
                                        ; =>  This Loop Header: Depth=2
                                        ;       Child Loop BB11_14 Depth 3
	v_mov_b32_e32 v10, 0
	s_and_b64 vcc, exec, s[2:3]
	s_cbranch_vccnz .LBB11_11
; %bb.13:                               ;   in Loop: Header=BB11_12 Depth=2
	s_mov_b32 s21, 0
	s_mov_b64 s[28:29], s[24:25]
.LBB11_14:                              ;   Parent Loop BB11_8 Depth=1
                                        ;     Parent Loop BB11_12 Depth=2
                                        ; =>    This Inner Loop Header: Depth=3
	v_mov_b32_e32 v12, s29
	s_add_u32 s46, s28, s37
	v_add_co_u32_e32 v11, vcc, s28, v3
	v_addc_co_u32_e32 v12, vcc, v12, v4, vcc
	s_addc_u32 s47, s29, s38
	v_mov_b32_e32 v13, s46
	v_mov_b32_e32 v14, s47
	flat_load_dword v15, v[11:12]
	flat_load_dword v16, v[13:14]
	s_add_i32 s21, s21, 1
	s_add_u32 s28, s28, s18
	s_addc_u32 s29, s29, s19
	s_cmp_eq_u32 s8, s21
	s_waitcnt vmcnt(0) lgkmcnt(0)
	v_fmac_f32_e32 v10, v15, v16
	s_cbranch_scc0 .LBB11_14
	s_branch .LBB11_11
.LBB11_15:                              ;   in Loop: Header=BB11_8 Depth=1
	s_or_b64 exec, exec, s[22:23]
	s_mov_b64 s[22:23], 0
.LBB11_16:                              ;   in Loop: Header=BB11_8 Depth=1
	s_andn2_b64 vcc, exec, s[22:23]
	s_cbranch_vccnz .LBB11_25
; %bb.17:                               ;   in Loop: Header=BB11_8 Depth=1
	v_cmp_gt_u32_e32 vcc, s12, v0
	s_and_saveexec_b64 s[2:3], vcc
	s_cbranch_execz .LBB11_24
; %bb.18:                               ;   in Loop: Header=BB11_8 Depth=1
	s_ashr_i32 s21, s20, 31
	s_lshl_b64 s[22:23], s[20:21], 2
	s_add_u32 s22, s40, s22
	s_addc_u32 s23, s41, s23
	s_cmp_gt_i32 s45, 0
	s_cselect_b64 s[24:25], -1, 0
	s_lshl_b64 s[26:27], s[12:13], 2
	s_add_u32 s26, s4, s26
	s_addc_u32 s27, s34, s27
	s_load_dword s17, s[26:27], 0x0
	s_mov_b64 s[26:27], 0
	v_mov_b32_e32 v3, v7
	v_mov_b32_e32 v10, v0
	s_branch .LBB11_21
.LBB11_19:                              ;   in Loop: Header=BB11_21 Depth=2
	v_mov_b32_e32 v11, 0
.LBB11_20:                              ;   in Loop: Header=BB11_21 Depth=2
	v_lshlrev_b32_e32 v4, 2, v10
	v_add_u32_e32 v5, s44, v4
	ds_read_b32 v5, v5
	v_add_u32_e32 v10, s11, v10
	v_cmp_le_u32_e32 vcc, s12, v10
	v_add_u32_e32 v4, 0, v4
	s_or_b64 s[26:27], vcc, s[26:27]
	s_waitcnt lgkmcnt(0)
	v_fmac_f32_e32 v5, s17, v11
	v_add_u32_e32 v3, s42, v3
	ds_write_b32 v4, v5
	s_andn2_b64 exec, exec, s[26:27]
	s_cbranch_execz .LBB11_24
.LBB11_21:                              ;   Parent Loop BB11_8 Depth=1
                                        ; =>  This Loop Header: Depth=2
                                        ;       Child Loop BB11_23 Depth 3
	s_andn2_b64 vcc, exec, s[24:25]
	s_cbranch_vccnz .LBB11_19
; %bb.22:                               ;   in Loop: Header=BB11_21 Depth=2
	v_ashrrev_i32_e32 v4, 31, v3
	v_lshlrev_b64 v[4:5], 2, v[3:4]
	v_mov_b32_e32 v11, s41
	v_add_co_u32_e32 v4, vcc, s40, v4
	v_addc_co_u32_e32 v5, vcc, v11, v5, vcc
	v_mov_b32_e32 v11, 0
	s_mov_b32 s21, 0
	s_mov_b64 s[28:29], s[22:23]
.LBB11_23:                              ;   Parent Loop BB11_8 Depth=1
                                        ;     Parent Loop BB11_21 Depth=2
                                        ; =>    This Inner Loop Header: Depth=3
	v_mov_b32_e32 v12, s28
	v_mov_b32_e32 v13, s29
	flat_load_dword v14, v[4:5]
	s_add_i32 s21, s21, 1
	flat_load_dword v12, v[12:13]
	s_add_u32 s28, s28, 4
	v_add_co_u32_e32 v4, vcc, 4, v4
	s_addc_u32 s29, s29, 0
	v_addc_co_u32_e32 v5, vcc, 0, v5, vcc
	s_cmp_eq_u32 s8, s21
	s_waitcnt vmcnt(0) lgkmcnt(0)
	v_fmac_f32_e32 v11, v14, v12
	s_cbranch_scc0 .LBB11_23
	s_branch .LBB11_20
.LBB11_24:                              ;   in Loop: Header=BB11_8 Depth=1
	s_or_b64 exec, exec, s[2:3]
.LBB11_25:                              ;   in Loop: Header=BB11_8 Depth=1
	v_cmp_gt_u32_e32 vcc, s12, v0
	s_waitcnt lgkmcnt(0)
	s_barrier
	s_and_saveexec_b64 s[2:3], vcc
	s_cbranch_execz .LBB11_7
; %bb.26:                               ;   in Loop: Header=BB11_8 Depth=1
	s_mov_b64 s[22:23], 0
	v_mov_b32_e32 v3, v9
	v_mov_b32_e32 v4, v8
	;; [unrolled: 1-line block ×3, first 2 shown]
.LBB11_27:                              ;   Parent Loop BB11_8 Depth=1
                                        ; =>  This Loop Header: Depth=2
                                        ;       Child Loop BB11_28 Depth 3
	v_mov_b32_e32 v10, 0
	s_mov_b64 s[24:25], 0
	v_mov_b32_e32 v11, v3
	v_mov_b32_e32 v12, v4
	;; [unrolled: 1-line block ×3, first 2 shown]
.LBB11_28:                              ;   Parent Loop BB11_8 Depth=1
                                        ;     Parent Loop BB11_27 Depth=2
                                        ; =>    This Inner Loop Header: Depth=3
	ds_read_b32 v14, v12
	ds_read_b32 v15, v11
	v_add_u32_e32 v13, 1, v13
	v_cmp_le_u32_e32 vcc, s12, v13
	v_add_u32_e32 v12, s35, v12
	v_add_u32_e32 v11, 4, v11
	s_or_b64 s[24:25], vcc, s[24:25]
	s_waitcnt lgkmcnt(0)
	v_fmac_f32_e32 v10, v14, v15
	s_andn2_b64 exec, exec, s[24:25]
	s_cbranch_execnz .LBB11_28
; %bb.29:                               ;   in Loop: Header=BB11_27 Depth=2
	s_or_b64 exec, exec, s[24:25]
	v_lshl_add_u32 v11, v5, 2, s44
	v_add_u32_e32 v5, s11, v5
	v_cmp_le_u32_e32 vcc, s12, v5
	v_add_u32_e32 v4, s43, v4
	s_or_b64 s[22:23], vcc, s[22:23]
	v_add_u32_e32 v3, s39, v3
	ds_write_b32 v11, v10
	s_andn2_b64 exec, exec, s[22:23]
	s_cbranch_execnz .LBB11_27
	s_branch .LBB11_7
.LBB11_30:
	s_and_saveexec_b64 s[2:3], s[0:1]
	s_cbranch_execz .LBB11_35
; %bb.31:
	v_add_u32_e32 v1, 4, v6
	v_mul_lo_u32 v3, s10, v1
	v_mad_u64_u32 v[1:2], s[0:1], v0, s30, v[0:1]
	s_lshl_b32 s5, s10, 2
	s_add_i32 s4, s30, 1
	s_add_i32 s6, s5, 4
	s_mul_i32 s4, s4, s11
	v_add3_u32 v4, v3, v6, 0
	s_mul_i32 s6, s6, s11
	s_mov_b64 s[0:1], 0
	v_mov_b32_e32 v5, s33
.LBB11_32:                              ; =>This Loop Header: Depth=1
                                        ;     Child Loop BB11_33 Depth 2
	s_mov_b64 s[2:3], 0
	v_mov_b32_e32 v6, v4
	v_mov_b32_e32 v2, v1
	;; [unrolled: 1-line block ×3, first 2 shown]
.LBB11_33:                              ;   Parent Loop BB11_32 Depth=1
                                        ; =>  This Inner Loop Header: Depth=2
	ds_read_b32 v10, v6
	v_ashrrev_i32_e32 v3, 31, v2
	v_add_u32_e32 v7, 1, v7
	v_lshlrev_b64 v[8:9], 2, v[2:3]
	v_cmp_le_i32_e32 vcc, s10, v7
	s_or_b64 s[2:3], vcc, s[2:3]
	v_add_co_u32_e32 v8, vcc, s31, v8
	v_add_u32_e32 v6, s5, v6
	v_add_u32_e32 v2, s30, v2
	v_addc_co_u32_e32 v9, vcc, v5, v9, vcc
	s_waitcnt lgkmcnt(0)
	global_store_dword v[8:9], v10, off
	s_andn2_b64 exec, exec, s[2:3]
	s_cbranch_execnz .LBB11_33
; %bb.34:                               ;   in Loop: Header=BB11_32 Depth=1
	s_or_b64 exec, exec, s[2:3]
	v_add_u32_e32 v0, s11, v0
	v_cmp_le_i32_e32 vcc, s10, v0
	v_add_u32_e32 v1, s4, v1
	s_or_b64 s[0:1], vcc, s[0:1]
	v_add_u32_e32 v4, s6, v4
	s_andn2_b64 exec, exec, s[0:1]
	s_cbranch_execnz .LBB11_32
.LBB11_35:
	s_endpgm
	.section	.rodata,"a",@progbits
	.p2align	6, 0x0
	.amdhsa_kernel _ZN9rocsolver6v33100L20larft_kernel_forwardIfPKPfEEv15rocblas_storev_iiT0_iilPT_lS8_il
		.amdhsa_group_segment_fixed_size 0
		.amdhsa_private_segment_fixed_size 0
		.amdhsa_kernarg_size 336
		.amdhsa_user_sgpr_count 6
		.amdhsa_user_sgpr_private_segment_buffer 1
		.amdhsa_user_sgpr_dispatch_ptr 0
		.amdhsa_user_sgpr_queue_ptr 0
		.amdhsa_user_sgpr_kernarg_segment_ptr 1
		.amdhsa_user_sgpr_dispatch_id 0
		.amdhsa_user_sgpr_flat_scratch_init 0
		.amdhsa_user_sgpr_private_segment_size 0
		.amdhsa_uses_dynamic_stack 0
		.amdhsa_system_sgpr_private_segment_wavefront_offset 0
		.amdhsa_system_sgpr_workgroup_id_x 1
		.amdhsa_system_sgpr_workgroup_id_y 1
		.amdhsa_system_sgpr_workgroup_id_z 0
		.amdhsa_system_sgpr_workgroup_info 0
		.amdhsa_system_vgpr_workitem_id 0
		.amdhsa_next_free_vgpr 17
		.amdhsa_next_free_sgpr 48
		.amdhsa_reserve_vcc 1
		.amdhsa_reserve_flat_scratch 0
		.amdhsa_float_round_mode_32 0
		.amdhsa_float_round_mode_16_64 0
		.amdhsa_float_denorm_mode_32 3
		.amdhsa_float_denorm_mode_16_64 3
		.amdhsa_dx10_clamp 1
		.amdhsa_ieee_mode 1
		.amdhsa_fp16_overflow 0
		.amdhsa_exception_fp_ieee_invalid_op 0
		.amdhsa_exception_fp_denorm_src 0
		.amdhsa_exception_fp_ieee_div_zero 0
		.amdhsa_exception_fp_ieee_overflow 0
		.amdhsa_exception_fp_ieee_underflow 0
		.amdhsa_exception_fp_ieee_inexact 0
		.amdhsa_exception_int_div_zero 0
	.end_amdhsa_kernel
	.section	.text._ZN9rocsolver6v33100L20larft_kernel_forwardIfPKPfEEv15rocblas_storev_iiT0_iilPT_lS8_il,"axG",@progbits,_ZN9rocsolver6v33100L20larft_kernel_forwardIfPKPfEEv15rocblas_storev_iiT0_iilPT_lS8_il,comdat
.Lfunc_end11:
	.size	_ZN9rocsolver6v33100L20larft_kernel_forwardIfPKPfEEv15rocblas_storev_iiT0_iilPT_lS8_il, .Lfunc_end11-_ZN9rocsolver6v33100L20larft_kernel_forwardIfPKPfEEv15rocblas_storev_iiT0_iilPT_lS8_il
                                        ; -- End function
	.set _ZN9rocsolver6v33100L20larft_kernel_forwardIfPKPfEEv15rocblas_storev_iiT0_iilPT_lS8_il.num_vgpr, 17
	.set _ZN9rocsolver6v33100L20larft_kernel_forwardIfPKPfEEv15rocblas_storev_iiT0_iilPT_lS8_il.num_agpr, 0
	.set _ZN9rocsolver6v33100L20larft_kernel_forwardIfPKPfEEv15rocblas_storev_iiT0_iilPT_lS8_il.numbered_sgpr, 48
	.set _ZN9rocsolver6v33100L20larft_kernel_forwardIfPKPfEEv15rocblas_storev_iiT0_iilPT_lS8_il.num_named_barrier, 0
	.set _ZN9rocsolver6v33100L20larft_kernel_forwardIfPKPfEEv15rocblas_storev_iiT0_iilPT_lS8_il.private_seg_size, 0
	.set _ZN9rocsolver6v33100L20larft_kernel_forwardIfPKPfEEv15rocblas_storev_iiT0_iilPT_lS8_il.uses_vcc, 1
	.set _ZN9rocsolver6v33100L20larft_kernel_forwardIfPKPfEEv15rocblas_storev_iiT0_iilPT_lS8_il.uses_flat_scratch, 0
	.set _ZN9rocsolver6v33100L20larft_kernel_forwardIfPKPfEEv15rocblas_storev_iiT0_iilPT_lS8_il.has_dyn_sized_stack, 0
	.set _ZN9rocsolver6v33100L20larft_kernel_forwardIfPKPfEEv15rocblas_storev_iiT0_iilPT_lS8_il.has_recursion, 0
	.set _ZN9rocsolver6v33100L20larft_kernel_forwardIfPKPfEEv15rocblas_storev_iiT0_iilPT_lS8_il.has_indirect_call, 0
	.section	.AMDGPU.csdata,"",@progbits
; Kernel info:
; codeLenInByte = 1492
; TotalNumSgprs: 52
; NumVgprs: 17
; ScratchSize: 0
; MemoryBound: 0
; FloatMode: 240
; IeeeMode: 1
; LDSByteSize: 0 bytes/workgroup (compile time only)
; SGPRBlocks: 6
; VGPRBlocks: 4
; NumSGPRsForWavesPerEU: 52
; NumVGPRsForWavesPerEU: 17
; Occupancy: 10
; WaveLimiterHint : 0
; COMPUTE_PGM_RSRC2:SCRATCH_EN: 0
; COMPUTE_PGM_RSRC2:USER_SGPR: 6
; COMPUTE_PGM_RSRC2:TRAP_HANDLER: 0
; COMPUTE_PGM_RSRC2:TGID_X_EN: 1
; COMPUTE_PGM_RSRC2:TGID_Y_EN: 1
; COMPUTE_PGM_RSRC2:TGID_Z_EN: 0
; COMPUTE_PGM_RSRC2:TIDIG_COMP_CNT: 0
	.section	.text._ZN9rocsolver6v33100L21larft_kernel_backwardIfPKPfEEv15rocblas_storev_iiT0_iilPT_lS8_il,"axG",@progbits,_ZN9rocsolver6v33100L21larft_kernel_backwardIfPKPfEEv15rocblas_storev_iiT0_iilPT_lS8_il,comdat
	.globl	_ZN9rocsolver6v33100L21larft_kernel_backwardIfPKPfEEv15rocblas_storev_iiT0_iilPT_lS8_il ; -- Begin function _ZN9rocsolver6v33100L21larft_kernel_backwardIfPKPfEEv15rocblas_storev_iiT0_iilPT_lS8_il
	.p2align	8
	.type	_ZN9rocsolver6v33100L21larft_kernel_backwardIfPKPfEEv15rocblas_storev_iiT0_iilPT_lS8_il,@function
_ZN9rocsolver6v33100L21larft_kernel_backwardIfPKPfEEv15rocblas_storev_iiT0_iilPT_lS8_il: ; @_ZN9rocsolver6v33100L21larft_kernel_backwardIfPKPfEEv15rocblas_storev_iiT0_iilPT_lS8_il
; %bb.0:
	s_mov_b32 s6, s7
	s_load_dword s26, s[4:5], 0x40
	s_load_dwordx2 s[0:1], s[4:5], 0x48
	s_load_dword s7, s[4:5], 0x5c
	s_load_dwordx4 s[8:11], s[4:5], 0x0
	s_load_dwordx2 s[2:3], s[4:5], 0x10
	s_load_dwordx4 s[12:15], s[4:5], 0x28
	s_load_dwordx2 s[16:17], s[4:5], 0x38
	s_waitcnt lgkmcnt(0)
	s_and_b32 s11, s7, 0xffff
	s_ashr_i32 s7, s6, 31
	s_lshl_b64 s[18:19], s[6:7], 3
	s_add_u32 s2, s2, s18
	s_addc_u32 s3, s3, s19
	s_mul_hi_u32 s18, s0, s6
	s_mul_i32 s19, s0, s7
	s_load_dwordx2 s[2:3], s[2:3], 0x0
	s_add_i32 s18, s18, s19
	s_mul_i32 s1, s1, s6
	s_add_i32 s1, s18, s1
	s_mul_i32 s0, s0, s6
	s_lshl_b64 s[0:1], s[0:1], 2
	s_add_u32 s27, s16, s0
	s_addc_u32 s28, s17, s1
	v_cmp_gt_i32_e64 s[0:1], s10, v0
	v_add_u32_e32 v6, 1, v0
	s_and_saveexec_b64 s[16:17], s[0:1]
	s_cbranch_execz .LBB12_5
; %bb.1:
	s_lshl_b32 s22, s10, 2
	s_add_i32 s18, s22, 0
	v_add_u32_e32 v3, 1, v0
	v_lshl_add_u32 v4, v0, 2, s18
	s_lshl_b32 s23, s11, 2
	s_mov_b64 s[18:19], 0
	v_mov_b32_e32 v5, s28
	v_mov_b32_e32 v7, v0
.LBB12_2:                               ; =>This Loop Header: Depth=1
                                        ;     Child Loop BB12_3 Depth 2
	s_mov_b64 s[20:21], 0
	v_mov_b32_e32 v1, v7
	v_mov_b32_e32 v8, v4
	s_mov_b32 s24, 0
.LBB12_3:                               ;   Parent Loop BB12_2 Depth=1
                                        ; =>  This Inner Loop Header: Depth=2
	v_ashrrev_i32_e32 v2, 31, v1
	v_lshlrev_b64 v[9:10], 2, v[1:2]
	s_add_i32 s24, s24, 1
	v_add_co_u32_e32 v9, vcc, s27, v9
	v_addc_co_u32_e32 v10, vcc, v5, v10, vcc
	global_load_dword v2, v[9:10], off
	v_cmp_eq_u32_e32 vcc, s24, v3
	v_add_u32_e32 v1, s26, v1
	s_or_b64 s[20:21], vcc, s[20:21]
	s_waitcnt vmcnt(0)
	ds_write_b32 v8, v2
	v_add_u32_e32 v8, s22, v8
	s_andn2_b64 exec, exec, s[20:21]
	s_cbranch_execnz .LBB12_3
; %bb.4:                                ;   in Loop: Header=BB12_2 Depth=1
	s_or_b64 exec, exec, s[20:21]
	v_add_u32_e32 v7, s11, v7
	v_cmp_le_i32_e32 vcc, s10, v7
	v_add_u32_e32 v3, s11, v3
	s_or_b64 s[18:19], vcc, s[18:19]
	v_add_u32_e32 v4, s23, v4
	s_andn2_b64 exec, exec, s[18:19]
	s_cbranch_execnz .LBB12_2
.LBB12_5:
	s_or_b64 exec, exec, s[16:17]
	s_cmp_lt_i32 s10, 2
	s_waitcnt lgkmcnt(0)
	s_barrier
	s_cbranch_scc1 .LBB12_30
; %bb.6:
	s_load_dwordx2 s[4:5], s[4:5], 0x18
	s_mul_i32 s7, s14, s7
	s_mul_hi_u32 s16, s14, s6
	s_add_i32 s7, s16, s7
	v_lshlrev_b32_e32 v3, 2, v0
	s_waitcnt lgkmcnt(0)
	s_ashr_i32 s17, s4, 31
	s_mov_b32 s16, s4
	s_mul_i32 s4, s15, s6
	s_add_i32 s7, s7, s4
	s_mul_i32 s6, s14, s6
	s_lshl_b64 s[6:7], s[6:7], 2
	s_add_u32 s4, s12, s6
	s_addc_u32 s29, s13, s7
	s_lshl_b32 s30, s10, 2
	s_add_i32 s31, s30, 0
	s_add_i32 s6, s10, -2
	s_sub_i32 s33, s9, s10
	s_mov_b32 s7, 0
	s_cmpk_lg_i32 s8, 0xb5
	s_cselect_b64 s[12:13], -1, 0
	s_add_i32 s34, s9, -2
	s_lshl_b64 s[14:15], s[16:17], 2
	s_lshl_b64 s[16:17], s[6:7], 2
	s_add_u32 s8, s14, s16
	s_addc_u32 s9, s15, s17
	s_add_u32 s35, s2, s8
	s_addc_u32 s36, s3, s9
	s_ashr_i32 s9, s5, 31
	s_mov_b32 s8, s5
	s_lshl_b64 s[8:9], s[8:9], 2
	s_add_u32 s16, s2, s16
	s_addc_u32 s17, s3, s17
	s_add_u32 s16, s16, s14
	s_addc_u32 s17, s17, s15
	s_lshl_b32 s37, s11, 2
	s_add_u32 s38, s2, s14
	s_addc_u32 s39, s3, s15
	s_add_i32 s2, s10, -1
	v_mov_b32_e32 v1, s17
	v_add_co_u32_e32 v2, vcc, s16, v3
	s_mul_i32 s14, s5, s2
	v_mul_lo_u32 v7, v0, s5
	s_add_i32 s2, s30, 4
	v_addc_co_u32_e32 v4, vcc, 0, v1, vcc
	s_mul_i32 s2, s10, s2
	v_add_co_u32_e32 v1, vcc, 4, v2
	s_add_i32 s2, s2, 0
	v_addc_co_u32_e32 v2, vcc, 0, v4, vcc
	s_mul_i32 s40, s5, s11
	s_mul_i32 s16, s5, s6
	v_add3_u32 v8, s2, v3, -4
	s_xor_b32 s41, s30, -4
	s_branch .LBB12_8
.LBB12_7:                               ;   in Loop: Header=BB12_8 Depth=1
	s_or_b64 exec, exec, s[2:3]
	s_add_i32 s2, s6, -1
	s_add_i32 s34, s34, -1
	s_add_u32 s35, s35, -4
	s_addc_u32 s36, s36, -1
	v_add_co_u32_e32 v1, vcc, -4, v1
	s_sub_i32 s14, s14, s5
	s_sub_i32 s16, s16, s5
	v_addc_co_u32_e32 v2, vcc, -1, v2, vcc
	v_add_u32_e32 v8, s41, v8
	s_cmp_lt_i32 s6, 1
	s_mov_b32 s6, s2
	s_waitcnt lgkmcnt(0)
	s_barrier
	s_cbranch_scc1 .LBB12_30
.LBB12_8:                               ; =>This Loop Header: Depth=1
                                        ;     Child Loop BB12_12 Depth 2
                                        ;       Child Loop BB12_14 Depth 3
                                        ;     Child Loop BB12_21 Depth 2
                                        ;       Child Loop BB12_23 Depth 3
	;; [unrolled: 2-line block ×3, first 2 shown]
	s_not_b32 s2, s6
	s_add_i32 s42, s10, s2
	s_lshl_b32 s2, s6, 2
	s_add_i32 s43, s31, s2
	s_mul_i32 s2, s6, s10
	s_lshl_b32 s2, s2, 2
	s_add_i32 s24, s6, s33
	s_add_i32 s43, s43, s2
	s_mov_b64 s[18:19], -1
	s_and_b64 vcc, exec, s[12:13]
	v_cmp_gt_i32_e64 s[2:3], s42, v0
	s_cbranch_vccz .LBB12_16
; %bb.9:                                ;   in Loop: Header=BB12_8 Depth=1
	s_and_saveexec_b64 s[18:19], s[2:3]
	s_cbranch_execz .LBB12_15
; %bb.10:                               ;   in Loop: Header=BB12_8 Depth=1
	s_cmp_gt_i32 s24, 0
	s_cselect_b64 s[2:3], -1, 0
	s_lshl_b64 s[20:21], s[6:7], 2
	s_add_u32 s20, s4, s20
	s_addc_u32 s21, s29, s21
	s_load_dword s15, s[20:21], 0x0
	v_cndmask_b32_e64 v3, 0, 1, s[2:3]
	v_cmp_ne_u32_e64 s[2:3], 1, v3
	v_mov_b32_e32 v4, v2
	s_mov_b64 s[20:21], 0
	v_mov_b32_e32 v3, v1
	v_mov_b32_e32 v5, v0
	s_branch .LBB12_12
.LBB12_11:                              ;   in Loop: Header=BB12_12 Depth=2
	v_lshlrev_b32_e32 v10, 2, v5
	v_add_u32_e32 v11, s43, v10
	ds_read_b32 v11, v11 offset:4
	v_add_u32_e32 v5, s11, v5
	v_cmp_le_i32_e32 vcc, s42, v5
	s_or_b64 s[20:21], vcc, s[20:21]
	v_add_co_u32_e32 v3, vcc, s37, v3
	v_add_u32_e32 v10, 0, v10
	s_waitcnt lgkmcnt(0)
	v_fmac_f32_e32 v11, s15, v9
	v_addc_co_u32_e32 v4, vcc, 0, v4, vcc
	ds_write_b32 v10, v11
	s_andn2_b64 exec, exec, s[20:21]
	s_cbranch_execz .LBB12_15
.LBB12_12:                              ;   Parent Loop BB12_8 Depth=1
                                        ; =>  This Loop Header: Depth=2
                                        ;       Child Loop BB12_14 Depth 3
	v_mov_b32_e32 v9, 0
	s_and_b64 vcc, exec, s[2:3]
	s_cbranch_vccnz .LBB12_11
; %bb.13:                               ;   in Loop: Header=BB12_12 Depth=2
	s_mov_b32 s17, 0
	s_mov_b64 s[22:23], 0
.LBB12_14:                              ;   Parent Loop BB12_8 Depth=1
                                        ;     Parent Loop BB12_12 Depth=2
                                        ; =>    This Inner Loop Header: Depth=3
	v_mov_b32_e32 v11, s23
	v_add_co_u32_e32 v10, vcc, s22, v3
	s_add_u32 s44, s35, s22
	v_addc_co_u32_e32 v11, vcc, v4, v11, vcc
	s_addc_u32 s45, s36, s23
	flat_load_dword v12, v[10:11]
	v_mov_b32_e32 v10, s44
	v_mov_b32_e32 v11, s45
	flat_load_dword v10, v[10:11]
	s_add_i32 s17, s17, 1
	s_add_u32 s22, s22, s8
	s_addc_u32 s23, s23, s9
	s_cmp_eq_u32 s34, s17
	s_waitcnt vmcnt(0) lgkmcnt(0)
	v_fmac_f32_e32 v9, v12, v10
	s_cbranch_scc0 .LBB12_14
	s_branch .LBB12_11
.LBB12_15:                              ;   in Loop: Header=BB12_8 Depth=1
	s_or_b64 exec, exec, s[18:19]
	s_mov_b64 s[18:19], 0
.LBB12_16:                              ;   in Loop: Header=BB12_8 Depth=1
	s_andn2_b64 vcc, exec, s[18:19]
	s_cbranch_vccnz .LBB12_25
; %bb.17:                               ;   in Loop: Header=BB12_8 Depth=1
	v_cmp_gt_i32_e32 vcc, s42, v0
	s_and_saveexec_b64 s[2:3], vcc
	s_cbranch_execz .LBB12_24
; %bb.18:                               ;   in Loop: Header=BB12_8 Depth=1
	s_ashr_i32 s15, s14, 31
	s_ashr_i32 s17, s16, 31
	s_lshl_b64 s[22:23], s[14:15], 2
	s_lshl_b64 s[18:19], s[16:17], 2
	s_add_u32 s18, s38, s18
	s_addc_u32 s19, s39, s19
	s_cmp_gt_i32 s24, 0
	s_cselect_b64 s[20:21], -1, 0
	s_lshl_b64 s[24:25], s[6:7], 2
	s_add_u32 s24, s4, s24
	s_addc_u32 s25, s29, s25
	s_load_dword s15, s[24:25], 0x0
	s_add_u32 s17, s38, s22
	s_addc_u32 s44, s39, s23
	s_mov_b64 s[22:23], 0
	v_mov_b32_e32 v3, v7
	v_mov_b32_e32 v9, v0
	s_branch .LBB12_21
.LBB12_19:                              ;   in Loop: Header=BB12_21 Depth=2
	v_mov_b32_e32 v10, 0
.LBB12_20:                              ;   in Loop: Header=BB12_21 Depth=2
	v_lshlrev_b32_e32 v4, 2, v9
	v_add_u32_e32 v5, s43, v4
	ds_read_b32 v5, v5 offset:4
	v_add_u32_e32 v9, s11, v9
	v_cmp_le_i32_e32 vcc, s42, v9
	v_add_u32_e32 v4, 0, v4
	s_or_b64 s[22:23], vcc, s[22:23]
	s_waitcnt lgkmcnt(0)
	v_fmac_f32_e32 v5, s15, v10
	v_add_u32_e32 v3, s40, v3
	ds_write_b32 v4, v5
	s_andn2_b64 exec, exec, s[22:23]
	s_cbranch_execz .LBB12_24
.LBB12_21:                              ;   Parent Loop BB12_8 Depth=1
                                        ; =>  This Loop Header: Depth=2
                                        ;       Child Loop BB12_23 Depth 3
	s_andn2_b64 vcc, exec, s[20:21]
	s_cbranch_vccnz .LBB12_19
; %bb.22:                               ;   in Loop: Header=BB12_21 Depth=2
	v_ashrrev_i32_e32 v4, 31, v3
	v_lshlrev_b64 v[4:5], 2, v[3:4]
	v_mov_b32_e32 v10, s44
	v_add_co_u32_e32 v4, vcc, s17, v4
	v_addc_co_u32_e32 v5, vcc, v10, v5, vcc
	v_mov_b32_e32 v10, 0
	s_mov_b32 s45, 0
	s_mov_b64 s[24:25], s[18:19]
.LBB12_23:                              ;   Parent Loop BB12_8 Depth=1
                                        ;     Parent Loop BB12_21 Depth=2
                                        ; =>    This Inner Loop Header: Depth=3
	v_mov_b32_e32 v11, s24
	v_mov_b32_e32 v12, s25
	flat_load_dword v13, v[4:5]
	s_add_i32 s45, s45, 1
	flat_load_dword v11, v[11:12]
	s_add_u32 s24, s24, 4
	v_add_co_u32_e32 v4, vcc, 4, v4
	s_addc_u32 s25, s25, 0
	v_addc_co_u32_e32 v5, vcc, 0, v5, vcc
	s_cmp_eq_u32 s34, s45
	s_waitcnt vmcnt(0) lgkmcnt(0)
	v_fmac_f32_e32 v10, v13, v11
	s_cbranch_scc0 .LBB12_23
	s_branch .LBB12_20
.LBB12_24:                              ;   in Loop: Header=BB12_8 Depth=1
	s_or_b64 exec, exec, s[2:3]
.LBB12_25:                              ;   in Loop: Header=BB12_8 Depth=1
	v_cmp_gt_i32_e32 vcc, s42, v0
	s_waitcnt lgkmcnt(0)
	s_barrier
	s_and_saveexec_b64 s[2:3], vcc
	s_cbranch_execz .LBB12_7
; %bb.26:                               ;   in Loop: Header=BB12_8 Depth=1
	s_mov_b64 s[18:19], 0
	v_mov_b32_e32 v3, v8
	v_mov_b32_e32 v4, v0
.LBB12_27:                              ;   Parent Loop BB12_8 Depth=1
                                        ; =>  This Loop Header: Depth=2
                                        ;       Child Loop BB12_28 Depth 3
	v_mov_b32_e32 v5, 0
	s_mov_b32 s15, -1
	s_mov_b32 s17, 0
	s_mov_b64 s[20:21], 0
	v_mov_b32_e32 v9, v3
.LBB12_28:                              ;   Parent Loop BB12_8 Depth=1
                                        ;     Parent Loop BB12_27 Depth=2
                                        ; =>    This Inner Loop Header: Depth=3
	v_mov_b32_e32 v11, s17
	ds_read_b32 v10, v9
	ds_read_b32 v11, v11
	s_add_i32 s15, s15, 1
	s_add_i32 s17, s17, 4
	v_cmp_eq_u32_e32 vcc, s15, v4
	v_add_u32_e32 v9, s30, v9
	s_or_b64 s[20:21], vcc, s[20:21]
	s_waitcnt lgkmcnt(0)
	v_fmac_f32_e32 v5, v10, v11
	s_andn2_b64 exec, exec, s[20:21]
	s_cbranch_execnz .LBB12_28
; %bb.29:                               ;   in Loop: Header=BB12_27 Depth=2
	s_or_b64 exec, exec, s[20:21]
	v_lshl_add_u32 v9, v4, 2, s43
	v_add_u32_e32 v4, s11, v4
	v_cmp_le_i32_e32 vcc, s42, v4
	s_or_b64 s[18:19], vcc, s[18:19]
	v_add_u32_e32 v3, s37, v3
	ds_write_b32 v9, v5 offset:4
	s_andn2_b64 exec, exec, s[18:19]
	s_cbranch_execnz .LBB12_27
	s_branch .LBB12_7
.LBB12_30:
	s_and_saveexec_b64 s[2:3], s[0:1]
	s_cbranch_execz .LBB12_35
; %bb.31:
	s_lshl_b32 s4, s10, 2
	s_add_i32 s0, s4, 0
	v_lshl_add_u32 v3, v0, 2, s0
	s_lshl_b32 s5, s11, 2
	s_mov_b64 s[0:1], 0
	v_mov_b32_e32 v4, s28
.LBB12_32:                              ; =>This Loop Header: Depth=1
                                        ;     Child Loop BB12_33 Depth 2
	s_mov_b64 s[2:3], 0
	v_mov_b32_e32 v5, v3
	v_mov_b32_e32 v1, v0
	s_mov_b32 s6, 0
.LBB12_33:                              ;   Parent Loop BB12_32 Depth=1
                                        ; =>  This Inner Loop Header: Depth=2
	ds_read_b32 v9, v5
	v_ashrrev_i32_e32 v2, 31, v1
	s_add_i32 s6, s6, 1
	v_lshlrev_b64 v[7:8], 2, v[1:2]
	v_cmp_eq_u32_e32 vcc, s6, v6
	s_or_b64 s[2:3], vcc, s[2:3]
	v_add_co_u32_e32 v7, vcc, s27, v7
	v_add_u32_e32 v5, s4, v5
	v_add_u32_e32 v1, s26, v1
	v_addc_co_u32_e32 v8, vcc, v4, v8, vcc
	s_waitcnt lgkmcnt(0)
	global_store_dword v[7:8], v9, off
	s_andn2_b64 exec, exec, s[2:3]
	s_cbranch_execnz .LBB12_33
; %bb.34:                               ;   in Loop: Header=BB12_32 Depth=1
	s_or_b64 exec, exec, s[2:3]
	v_add_u32_e32 v0, s11, v0
	v_cmp_le_i32_e32 vcc, s10, v0
	v_add_u32_e32 v6, s11, v6
	s_or_b64 s[0:1], vcc, s[0:1]
	v_add_u32_e32 v3, s5, v3
	s_andn2_b64 exec, exec, s[0:1]
	s_cbranch_execnz .LBB12_32
.LBB12_35:
	s_endpgm
	.section	.rodata,"a",@progbits
	.p2align	6, 0x0
	.amdhsa_kernel _ZN9rocsolver6v33100L21larft_kernel_backwardIfPKPfEEv15rocblas_storev_iiT0_iilPT_lS8_il
		.amdhsa_group_segment_fixed_size 0
		.amdhsa_private_segment_fixed_size 0
		.amdhsa_kernarg_size 336
		.amdhsa_user_sgpr_count 6
		.amdhsa_user_sgpr_private_segment_buffer 1
		.amdhsa_user_sgpr_dispatch_ptr 0
		.amdhsa_user_sgpr_queue_ptr 0
		.amdhsa_user_sgpr_kernarg_segment_ptr 1
		.amdhsa_user_sgpr_dispatch_id 0
		.amdhsa_user_sgpr_flat_scratch_init 0
		.amdhsa_user_sgpr_private_segment_size 0
		.amdhsa_uses_dynamic_stack 0
		.amdhsa_system_sgpr_private_segment_wavefront_offset 0
		.amdhsa_system_sgpr_workgroup_id_x 1
		.amdhsa_system_sgpr_workgroup_id_y 1
		.amdhsa_system_sgpr_workgroup_id_z 0
		.amdhsa_system_sgpr_workgroup_info 0
		.amdhsa_system_vgpr_workitem_id 0
		.amdhsa_next_free_vgpr 14
		.amdhsa_next_free_sgpr 46
		.amdhsa_reserve_vcc 1
		.amdhsa_reserve_flat_scratch 0
		.amdhsa_float_round_mode_32 0
		.amdhsa_float_round_mode_16_64 0
		.amdhsa_float_denorm_mode_32 3
		.amdhsa_float_denorm_mode_16_64 3
		.amdhsa_dx10_clamp 1
		.amdhsa_ieee_mode 1
		.amdhsa_fp16_overflow 0
		.amdhsa_exception_fp_ieee_invalid_op 0
		.amdhsa_exception_fp_denorm_src 0
		.amdhsa_exception_fp_ieee_div_zero 0
		.amdhsa_exception_fp_ieee_overflow 0
		.amdhsa_exception_fp_ieee_underflow 0
		.amdhsa_exception_fp_ieee_inexact 0
		.amdhsa_exception_int_div_zero 0
	.end_amdhsa_kernel
	.section	.text._ZN9rocsolver6v33100L21larft_kernel_backwardIfPKPfEEv15rocblas_storev_iiT0_iilPT_lS8_il,"axG",@progbits,_ZN9rocsolver6v33100L21larft_kernel_backwardIfPKPfEEv15rocblas_storev_iiT0_iilPT_lS8_il,comdat
.Lfunc_end12:
	.size	_ZN9rocsolver6v33100L21larft_kernel_backwardIfPKPfEEv15rocblas_storev_iiT0_iilPT_lS8_il, .Lfunc_end12-_ZN9rocsolver6v33100L21larft_kernel_backwardIfPKPfEEv15rocblas_storev_iiT0_iilPT_lS8_il
                                        ; -- End function
	.set _ZN9rocsolver6v33100L21larft_kernel_backwardIfPKPfEEv15rocblas_storev_iiT0_iilPT_lS8_il.num_vgpr, 14
	.set _ZN9rocsolver6v33100L21larft_kernel_backwardIfPKPfEEv15rocblas_storev_iiT0_iilPT_lS8_il.num_agpr, 0
	.set _ZN9rocsolver6v33100L21larft_kernel_backwardIfPKPfEEv15rocblas_storev_iiT0_iilPT_lS8_il.numbered_sgpr, 46
	.set _ZN9rocsolver6v33100L21larft_kernel_backwardIfPKPfEEv15rocblas_storev_iiT0_iilPT_lS8_il.num_named_barrier, 0
	.set _ZN9rocsolver6v33100L21larft_kernel_backwardIfPKPfEEv15rocblas_storev_iiT0_iilPT_lS8_il.private_seg_size, 0
	.set _ZN9rocsolver6v33100L21larft_kernel_backwardIfPKPfEEv15rocblas_storev_iiT0_iilPT_lS8_il.uses_vcc, 1
	.set _ZN9rocsolver6v33100L21larft_kernel_backwardIfPKPfEEv15rocblas_storev_iiT0_iilPT_lS8_il.uses_flat_scratch, 0
	.set _ZN9rocsolver6v33100L21larft_kernel_backwardIfPKPfEEv15rocblas_storev_iiT0_iilPT_lS8_il.has_dyn_sized_stack, 0
	.set _ZN9rocsolver6v33100L21larft_kernel_backwardIfPKPfEEv15rocblas_storev_iiT0_iilPT_lS8_il.has_recursion, 0
	.set _ZN9rocsolver6v33100L21larft_kernel_backwardIfPKPfEEv15rocblas_storev_iiT0_iilPT_lS8_il.has_indirect_call, 0
	.section	.AMDGPU.csdata,"",@progbits
; Kernel info:
; codeLenInByte = 1488
; TotalNumSgprs: 50
; NumVgprs: 14
; ScratchSize: 0
; MemoryBound: 0
; FloatMode: 240
; IeeeMode: 1
; LDSByteSize: 0 bytes/workgroup (compile time only)
; SGPRBlocks: 6
; VGPRBlocks: 3
; NumSGPRsForWavesPerEU: 50
; NumVGPRsForWavesPerEU: 14
; Occupancy: 10
; WaveLimiterHint : 0
; COMPUTE_PGM_RSRC2:SCRATCH_EN: 0
; COMPUTE_PGM_RSRC2:USER_SGPR: 6
; COMPUTE_PGM_RSRC2:TRAP_HANDLER: 0
; COMPUTE_PGM_RSRC2:TGID_X_EN: 1
; COMPUTE_PGM_RSRC2:TGID_Y_EN: 1
; COMPUTE_PGM_RSRC2:TGID_Z_EN: 0
; COMPUTE_PGM_RSRC2:TIDIG_COMP_CNT: 0
	.section	.text._ZN9rocsolver6v33100L9copymatA1IfPKPfEEviiT0_iilPT_,"axG",@progbits,_ZN9rocsolver6v33100L9copymatA1IfPKPfEEviiT0_iilPT_,comdat
	.globl	_ZN9rocsolver6v33100L9copymatA1IfPKPfEEviiT0_iilPT_ ; -- Begin function _ZN9rocsolver6v33100L9copymatA1IfPKPfEEviiT0_iilPT_
	.p2align	8
	.type	_ZN9rocsolver6v33100L9copymatA1IfPKPfEEviiT0_iilPT_,@function
_ZN9rocsolver6v33100L9copymatA1IfPKPfEEviiT0_iilPT_: ; @_ZN9rocsolver6v33100L9copymatA1IfPKPfEEviiT0_iilPT_
; %bb.0:
	s_load_dword s0, s[4:5], 0x34
	s_load_dwordx2 s[2:3], s[4:5], 0x0
	s_waitcnt lgkmcnt(0)
	s_lshr_b32 s1, s0, 16
	s_and_b32 s0, s0, 0xffff
	s_mul_i32 s6, s6, s0
	s_mul_i32 s7, s7, s1
	v_add_u32_e32 v2, s6, v0
	v_add_u32_e32 v0, s7, v1
	v_cmp_gt_u32_e32 vcc, s2, v0
	v_cmp_gt_u32_e64 s[0:1], s3, v2
	s_and_b64 s[0:1], s[0:1], vcc
	s_and_saveexec_b64 s[6:7], s[0:1]
	s_cbranch_execz .LBB13_2
; %bb.1:
	s_load_dwordx4 s[12:15], s[4:5], 0x8
	s_load_dwordx2 s[0:1], s[4:5], 0x20
	s_ashr_i32 s4, s2, 31
	s_mul_hi_u32 s6, s2, s8
	s_mul_i32 s4, s4, s8
	s_ashr_i32 s5, s3, 31
	s_add_i32 s4, s6, s4
	s_mul_i32 s6, s2, s8
	s_mul_i32 s5, s6, s5
	s_mul_hi_u32 s7, s6, s3
	s_add_i32 s5, s7, s5
	s_mul_i32 s4, s4, s3
	s_add_i32 s5, s5, s4
	s_mul_i32 s4, s6, s3
	s_lshl_b64 s[4:5], s[4:5], 2
	s_mov_b32 s9, 0
	s_waitcnt lgkmcnt(0)
	s_add_u32 s3, s0, s4
	s_addc_u32 s10, s1, s5
	s_ashr_i32 s1, s14, 31
	s_lshl_b64 s[4:5], s[8:9], 3
	s_add_u32 s4, s12, s4
	s_addc_u32 s5, s13, s5
	s_load_dwordx2 s[4:5], s[4:5], 0x0
	v_mad_u64_u32 v[3:4], s[6:7], v2, s15, v[0:1]
	s_mov_b32 s0, s14
	s_lshl_b64 s[0:1], s[0:1], 2
	v_mov_b32_e32 v4, 0
	s_waitcnt lgkmcnt(0)
	s_add_u32 s0, s4, s0
	v_lshlrev_b64 v[5:6], 2, v[3:4]
	s_addc_u32 s1, s5, s1
	v_mov_b32_e32 v1, s1
	v_add_co_u32_e32 v5, vcc, s0, v5
	v_addc_co_u32_e32 v6, vcc, v1, v6, vcc
	flat_load_dword v3, v[5:6]
	v_mad_u64_u32 v[0:1], s[0:1], v2, s2, v[0:1]
	v_mov_b32_e32 v1, v4
	v_mov_b32_e32 v2, s10
	v_lshlrev_b64 v[0:1], 2, v[0:1]
	v_add_co_u32_e32 v0, vcc, s3, v0
	v_addc_co_u32_e32 v1, vcc, v2, v1, vcc
	s_waitcnt vmcnt(0) lgkmcnt(0)
	global_store_dword v[0:1], v3, off
.LBB13_2:
	s_endpgm
	.section	.rodata,"a",@progbits
	.p2align	6, 0x0
	.amdhsa_kernel _ZN9rocsolver6v33100L9copymatA1IfPKPfEEviiT0_iilPT_
		.amdhsa_group_segment_fixed_size 0
		.amdhsa_private_segment_fixed_size 0
		.amdhsa_kernarg_size 296
		.amdhsa_user_sgpr_count 6
		.amdhsa_user_sgpr_private_segment_buffer 1
		.amdhsa_user_sgpr_dispatch_ptr 0
		.amdhsa_user_sgpr_queue_ptr 0
		.amdhsa_user_sgpr_kernarg_segment_ptr 1
		.amdhsa_user_sgpr_dispatch_id 0
		.amdhsa_user_sgpr_flat_scratch_init 0
		.amdhsa_user_sgpr_private_segment_size 0
		.amdhsa_uses_dynamic_stack 0
		.amdhsa_system_sgpr_private_segment_wavefront_offset 0
		.amdhsa_system_sgpr_workgroup_id_x 1
		.amdhsa_system_sgpr_workgroup_id_y 1
		.amdhsa_system_sgpr_workgroup_id_z 1
		.amdhsa_system_sgpr_workgroup_info 0
		.amdhsa_system_vgpr_workitem_id 1
		.amdhsa_next_free_vgpr 7
		.amdhsa_next_free_sgpr 16
		.amdhsa_reserve_vcc 1
		.amdhsa_reserve_flat_scratch 0
		.amdhsa_float_round_mode_32 0
		.amdhsa_float_round_mode_16_64 0
		.amdhsa_float_denorm_mode_32 3
		.amdhsa_float_denorm_mode_16_64 3
		.amdhsa_dx10_clamp 1
		.amdhsa_ieee_mode 1
		.amdhsa_fp16_overflow 0
		.amdhsa_exception_fp_ieee_invalid_op 0
		.amdhsa_exception_fp_denorm_src 0
		.amdhsa_exception_fp_ieee_div_zero 0
		.amdhsa_exception_fp_ieee_overflow 0
		.amdhsa_exception_fp_ieee_underflow 0
		.amdhsa_exception_fp_ieee_inexact 0
		.amdhsa_exception_int_div_zero 0
	.end_amdhsa_kernel
	.section	.text._ZN9rocsolver6v33100L9copymatA1IfPKPfEEviiT0_iilPT_,"axG",@progbits,_ZN9rocsolver6v33100L9copymatA1IfPKPfEEviiT0_iilPT_,comdat
.Lfunc_end13:
	.size	_ZN9rocsolver6v33100L9copymatA1IfPKPfEEviiT0_iilPT_, .Lfunc_end13-_ZN9rocsolver6v33100L9copymatA1IfPKPfEEviiT0_iilPT_
                                        ; -- End function
	.set _ZN9rocsolver6v33100L9copymatA1IfPKPfEEviiT0_iilPT_.num_vgpr, 7
	.set _ZN9rocsolver6v33100L9copymatA1IfPKPfEEviiT0_iilPT_.num_agpr, 0
	.set _ZN9rocsolver6v33100L9copymatA1IfPKPfEEviiT0_iilPT_.numbered_sgpr, 16
	.set _ZN9rocsolver6v33100L9copymatA1IfPKPfEEviiT0_iilPT_.num_named_barrier, 0
	.set _ZN9rocsolver6v33100L9copymatA1IfPKPfEEviiT0_iilPT_.private_seg_size, 0
	.set _ZN9rocsolver6v33100L9copymatA1IfPKPfEEviiT0_iilPT_.uses_vcc, 1
	.set _ZN9rocsolver6v33100L9copymatA1IfPKPfEEviiT0_iilPT_.uses_flat_scratch, 0
	.set _ZN9rocsolver6v33100L9copymatA1IfPKPfEEviiT0_iilPT_.has_dyn_sized_stack, 0
	.set _ZN9rocsolver6v33100L9copymatA1IfPKPfEEviiT0_iilPT_.has_recursion, 0
	.set _ZN9rocsolver6v33100L9copymatA1IfPKPfEEviiT0_iilPT_.has_indirect_call, 0
	.section	.AMDGPU.csdata,"",@progbits
; Kernel info:
; codeLenInByte = 288
; TotalNumSgprs: 20
; NumVgprs: 7
; ScratchSize: 0
; MemoryBound: 0
; FloatMode: 240
; IeeeMode: 1
; LDSByteSize: 0 bytes/workgroup (compile time only)
; SGPRBlocks: 2
; VGPRBlocks: 1
; NumSGPRsForWavesPerEU: 20
; NumVGPRsForWavesPerEU: 7
; Occupancy: 10
; WaveLimiterHint : 1
; COMPUTE_PGM_RSRC2:SCRATCH_EN: 0
; COMPUTE_PGM_RSRC2:USER_SGPR: 6
; COMPUTE_PGM_RSRC2:TRAP_HANDLER: 0
; COMPUTE_PGM_RSRC2:TGID_X_EN: 1
; COMPUTE_PGM_RSRC2:TGID_Y_EN: 1
; COMPUTE_PGM_RSRC2:TGID_Z_EN: 1
; COMPUTE_PGM_RSRC2:TIDIG_COMP_CNT: 1
	.section	.text._ZN9rocsolver6v33100L8addmatA1IfPKPfEEviiT0_iilPT_,"axG",@progbits,_ZN9rocsolver6v33100L8addmatA1IfPKPfEEviiT0_iilPT_,comdat
	.globl	_ZN9rocsolver6v33100L8addmatA1IfPKPfEEviiT0_iilPT_ ; -- Begin function _ZN9rocsolver6v33100L8addmatA1IfPKPfEEviiT0_iilPT_
	.p2align	8
	.type	_ZN9rocsolver6v33100L8addmatA1IfPKPfEEviiT0_iilPT_,@function
_ZN9rocsolver6v33100L8addmatA1IfPKPfEEviiT0_iilPT_: ; @_ZN9rocsolver6v33100L8addmatA1IfPKPfEEviiT0_iilPT_
; %bb.0:
	s_load_dword s0, s[4:5], 0x34
	s_load_dwordx2 s[10:11], s[4:5], 0x0
	s_waitcnt lgkmcnt(0)
	s_lshr_b32 s1, s0, 16
	s_and_b32 s0, s0, 0xffff
	s_mul_i32 s6, s6, s0
	s_mul_i32 s7, s7, s1
	v_add_u32_e32 v2, s6, v0
	v_add_u32_e32 v0, s7, v1
	v_cmp_gt_u32_e32 vcc, s10, v0
	v_cmp_gt_u32_e64 s[0:1], s11, v2
	s_and_b64 s[0:1], s[0:1], vcc
	s_and_saveexec_b64 s[2:3], s[0:1]
	s_cbranch_execz .LBB14_2
; %bb.1:
	s_load_dwordx4 s[0:3], s[4:5], 0x8
	s_load_dwordx2 s[6:7], s[4:5], 0x20
	s_ashr_i32 s4, s10, 31
	s_mul_hi_u32 s12, s10, s8
	s_mul_i32 s4, s4, s8
	s_ashr_i32 s5, s11, 31
	s_add_i32 s4, s12, s4
	s_mul_i32 s12, s10, s8
	s_mul_i32 s5, s12, s5
	s_mul_hi_u32 s13, s12, s11
	s_add_i32 s5, s13, s5
	s_mul_i32 s4, s4, s11
	s_add_i32 s5, s5, s4
	s_mul_i32 s4, s12, s11
	s_lshl_b64 s[4:5], s[4:5], 2
	s_mov_b32 s9, 0
	s_waitcnt lgkmcnt(0)
	s_add_u32 s11, s6, s4
	s_addc_u32 s12, s7, s5
	s_ashr_i32 s5, s2, 31
	s_lshl_b64 s[6:7], s[8:9], 3
	s_add_u32 s0, s0, s6
	s_addc_u32 s1, s1, s7
	s_load_dwordx2 s[0:1], s[0:1], 0x0
	v_mad_u64_u32 v[3:4], s[6:7], v2, s10, v[0:1]
	s_mov_b32 s4, s2
	s_lshl_b64 s[4:5], s[4:5], 2
	v_mov_b32_e32 v4, 0
	s_waitcnt lgkmcnt(0)
	s_add_u32 s2, s0, s4
	v_lshlrev_b64 v[5:6], 2, v[3:4]
	s_addc_u32 s4, s1, s5
	v_mad_u64_u32 v[0:1], s[0:1], v2, s3, v[0:1]
	v_mov_b32_e32 v3, s12
	v_add_co_u32_e32 v1, vcc, s11, v5
	v_addc_co_u32_e32 v2, vcc, v3, v6, vcc
	global_load_dword v2, v[1:2], off
	v_mov_b32_e32 v1, v4
	v_lshlrev_b64 v[0:1], 2, v[0:1]
	v_mov_b32_e32 v3, s4
	v_add_co_u32_e32 v0, vcc, s2, v0
	v_addc_co_u32_e32 v1, vcc, v3, v1, vcc
	flat_load_dword v3, v[0:1]
	s_waitcnt vmcnt(0) lgkmcnt(0)
	v_sub_f32_e32 v2, v3, v2
	flat_store_dword v[0:1], v2
.LBB14_2:
	s_endpgm
	.section	.rodata,"a",@progbits
	.p2align	6, 0x0
	.amdhsa_kernel _ZN9rocsolver6v33100L8addmatA1IfPKPfEEviiT0_iilPT_
		.amdhsa_group_segment_fixed_size 0
		.amdhsa_private_segment_fixed_size 0
		.amdhsa_kernarg_size 296
		.amdhsa_user_sgpr_count 6
		.amdhsa_user_sgpr_private_segment_buffer 1
		.amdhsa_user_sgpr_dispatch_ptr 0
		.amdhsa_user_sgpr_queue_ptr 0
		.amdhsa_user_sgpr_kernarg_segment_ptr 1
		.amdhsa_user_sgpr_dispatch_id 0
		.amdhsa_user_sgpr_flat_scratch_init 0
		.amdhsa_user_sgpr_private_segment_size 0
		.amdhsa_uses_dynamic_stack 0
		.amdhsa_system_sgpr_private_segment_wavefront_offset 0
		.amdhsa_system_sgpr_workgroup_id_x 1
		.amdhsa_system_sgpr_workgroup_id_y 1
		.amdhsa_system_sgpr_workgroup_id_z 1
		.amdhsa_system_sgpr_workgroup_info 0
		.amdhsa_system_vgpr_workitem_id 1
		.amdhsa_next_free_vgpr 7
		.amdhsa_next_free_sgpr 14
		.amdhsa_reserve_vcc 1
		.amdhsa_reserve_flat_scratch 0
		.amdhsa_float_round_mode_32 0
		.amdhsa_float_round_mode_16_64 0
		.amdhsa_float_denorm_mode_32 3
		.amdhsa_float_denorm_mode_16_64 3
		.amdhsa_dx10_clamp 1
		.amdhsa_ieee_mode 1
		.amdhsa_fp16_overflow 0
		.amdhsa_exception_fp_ieee_invalid_op 0
		.amdhsa_exception_fp_denorm_src 0
		.amdhsa_exception_fp_ieee_div_zero 0
		.amdhsa_exception_fp_ieee_overflow 0
		.amdhsa_exception_fp_ieee_underflow 0
		.amdhsa_exception_fp_ieee_inexact 0
		.amdhsa_exception_int_div_zero 0
	.end_amdhsa_kernel
	.section	.text._ZN9rocsolver6v33100L8addmatA1IfPKPfEEviiT0_iilPT_,"axG",@progbits,_ZN9rocsolver6v33100L8addmatA1IfPKPfEEviiT0_iilPT_,comdat
.Lfunc_end14:
	.size	_ZN9rocsolver6v33100L8addmatA1IfPKPfEEviiT0_iilPT_, .Lfunc_end14-_ZN9rocsolver6v33100L8addmatA1IfPKPfEEviiT0_iilPT_
                                        ; -- End function
	.set _ZN9rocsolver6v33100L8addmatA1IfPKPfEEviiT0_iilPT_.num_vgpr, 7
	.set _ZN9rocsolver6v33100L8addmatA1IfPKPfEEviiT0_iilPT_.num_agpr, 0
	.set _ZN9rocsolver6v33100L8addmatA1IfPKPfEEviiT0_iilPT_.numbered_sgpr, 14
	.set _ZN9rocsolver6v33100L8addmatA1IfPKPfEEviiT0_iilPT_.num_named_barrier, 0
	.set _ZN9rocsolver6v33100L8addmatA1IfPKPfEEviiT0_iilPT_.private_seg_size, 0
	.set _ZN9rocsolver6v33100L8addmatA1IfPKPfEEviiT0_iilPT_.uses_vcc, 1
	.set _ZN9rocsolver6v33100L8addmatA1IfPKPfEEviiT0_iilPT_.uses_flat_scratch, 0
	.set _ZN9rocsolver6v33100L8addmatA1IfPKPfEEviiT0_iilPT_.has_dyn_sized_stack, 0
	.set _ZN9rocsolver6v33100L8addmatA1IfPKPfEEviiT0_iilPT_.has_recursion, 0
	.set _ZN9rocsolver6v33100L8addmatA1IfPKPfEEviiT0_iilPT_.has_indirect_call, 0
	.section	.AMDGPU.csdata,"",@progbits
; Kernel info:
; codeLenInByte = 300
; TotalNumSgprs: 18
; NumVgprs: 7
; ScratchSize: 0
; MemoryBound: 0
; FloatMode: 240
; IeeeMode: 1
; LDSByteSize: 0 bytes/workgroup (compile time only)
; SGPRBlocks: 2
; VGPRBlocks: 1
; NumSGPRsForWavesPerEU: 18
; NumVGPRsForWavesPerEU: 7
; Occupancy: 10
; WaveLimiterHint : 1
; COMPUTE_PGM_RSRC2:SCRATCH_EN: 0
; COMPUTE_PGM_RSRC2:USER_SGPR: 6
; COMPUTE_PGM_RSRC2:TRAP_HANDLER: 0
; COMPUTE_PGM_RSRC2:TGID_X_EN: 1
; COMPUTE_PGM_RSRC2:TGID_Y_EN: 1
; COMPUTE_PGM_RSRC2:TGID_Z_EN: 1
; COMPUTE_PGM_RSRC2:TIDIG_COMP_CNT: 1
	.section	.text._ZN9rocsolver6v33100L6iota_nIdEEvPT_jS2_,"axG",@progbits,_ZN9rocsolver6v33100L6iota_nIdEEvPT_jS2_,comdat
	.globl	_ZN9rocsolver6v33100L6iota_nIdEEvPT_jS2_ ; -- Begin function _ZN9rocsolver6v33100L6iota_nIdEEvPT_jS2_
	.p2align	8
	.type	_ZN9rocsolver6v33100L6iota_nIdEEvPT_jS2_,@function
_ZN9rocsolver6v33100L6iota_nIdEEvPT_jS2_: ; @_ZN9rocsolver6v33100L6iota_nIdEEvPT_jS2_
; %bb.0:
	s_load_dword s0, s[4:5], 0x8
	s_waitcnt lgkmcnt(0)
	v_cmp_gt_u32_e32 vcc, s0, v0
	s_and_saveexec_b64 s[0:1], vcc
	s_cbranch_execz .LBB15_2
; %bb.1:
	s_load_dwordx2 s[0:1], s[4:5], 0x10
	v_cvt_f64_u32_e32 v[1:2], v0
	v_lshlrev_b32_e32 v0, 3, v0
	s_waitcnt lgkmcnt(0)
	v_add_f64 v[1:2], s[0:1], v[1:2]
	s_load_dwordx2 s[0:1], s[4:5], 0x0
	s_waitcnt lgkmcnt(0)
	global_store_dwordx2 v0, v[1:2], s[0:1]
.LBB15_2:
	s_endpgm
	.section	.rodata,"a",@progbits
	.p2align	6, 0x0
	.amdhsa_kernel _ZN9rocsolver6v33100L6iota_nIdEEvPT_jS2_
		.amdhsa_group_segment_fixed_size 0
		.amdhsa_private_segment_fixed_size 0
		.amdhsa_kernarg_size 24
		.amdhsa_user_sgpr_count 6
		.amdhsa_user_sgpr_private_segment_buffer 1
		.amdhsa_user_sgpr_dispatch_ptr 0
		.amdhsa_user_sgpr_queue_ptr 0
		.amdhsa_user_sgpr_kernarg_segment_ptr 1
		.amdhsa_user_sgpr_dispatch_id 0
		.amdhsa_user_sgpr_flat_scratch_init 0
		.amdhsa_user_sgpr_private_segment_size 0
		.amdhsa_uses_dynamic_stack 0
		.amdhsa_system_sgpr_private_segment_wavefront_offset 0
		.amdhsa_system_sgpr_workgroup_id_x 1
		.amdhsa_system_sgpr_workgroup_id_y 0
		.amdhsa_system_sgpr_workgroup_id_z 0
		.amdhsa_system_sgpr_workgroup_info 0
		.amdhsa_system_vgpr_workitem_id 0
		.amdhsa_next_free_vgpr 3
		.amdhsa_next_free_sgpr 6
		.amdhsa_reserve_vcc 1
		.amdhsa_reserve_flat_scratch 0
		.amdhsa_float_round_mode_32 0
		.amdhsa_float_round_mode_16_64 0
		.amdhsa_float_denorm_mode_32 3
		.amdhsa_float_denorm_mode_16_64 3
		.amdhsa_dx10_clamp 1
		.amdhsa_ieee_mode 1
		.amdhsa_fp16_overflow 0
		.amdhsa_exception_fp_ieee_invalid_op 0
		.amdhsa_exception_fp_denorm_src 0
		.amdhsa_exception_fp_ieee_div_zero 0
		.amdhsa_exception_fp_ieee_overflow 0
		.amdhsa_exception_fp_ieee_underflow 0
		.amdhsa_exception_fp_ieee_inexact 0
		.amdhsa_exception_int_div_zero 0
	.end_amdhsa_kernel
	.section	.text._ZN9rocsolver6v33100L6iota_nIdEEvPT_jS2_,"axG",@progbits,_ZN9rocsolver6v33100L6iota_nIdEEvPT_jS2_,comdat
.Lfunc_end15:
	.size	_ZN9rocsolver6v33100L6iota_nIdEEvPT_jS2_, .Lfunc_end15-_ZN9rocsolver6v33100L6iota_nIdEEvPT_jS2_
                                        ; -- End function
	.set _ZN9rocsolver6v33100L6iota_nIdEEvPT_jS2_.num_vgpr, 3
	.set _ZN9rocsolver6v33100L6iota_nIdEEvPT_jS2_.num_agpr, 0
	.set _ZN9rocsolver6v33100L6iota_nIdEEvPT_jS2_.numbered_sgpr, 6
	.set _ZN9rocsolver6v33100L6iota_nIdEEvPT_jS2_.num_named_barrier, 0
	.set _ZN9rocsolver6v33100L6iota_nIdEEvPT_jS2_.private_seg_size, 0
	.set _ZN9rocsolver6v33100L6iota_nIdEEvPT_jS2_.uses_vcc, 1
	.set _ZN9rocsolver6v33100L6iota_nIdEEvPT_jS2_.uses_flat_scratch, 0
	.set _ZN9rocsolver6v33100L6iota_nIdEEvPT_jS2_.has_dyn_sized_stack, 0
	.set _ZN9rocsolver6v33100L6iota_nIdEEvPT_jS2_.has_recursion, 0
	.set _ZN9rocsolver6v33100L6iota_nIdEEvPT_jS2_.has_indirect_call, 0
	.section	.AMDGPU.csdata,"",@progbits
; Kernel info:
; codeLenInByte = 76
; TotalNumSgprs: 10
; NumVgprs: 3
; ScratchSize: 0
; MemoryBound: 0
; FloatMode: 240
; IeeeMode: 1
; LDSByteSize: 0 bytes/workgroup (compile time only)
; SGPRBlocks: 1
; VGPRBlocks: 0
; NumSGPRsForWavesPerEU: 10
; NumVGPRsForWavesPerEU: 3
; Occupancy: 10
; WaveLimiterHint : 0
; COMPUTE_PGM_RSRC2:SCRATCH_EN: 0
; COMPUTE_PGM_RSRC2:USER_SGPR: 6
; COMPUTE_PGM_RSRC2:TRAP_HANDLER: 0
; COMPUTE_PGM_RSRC2:TGID_X_EN: 1
; COMPUTE_PGM_RSRC2:TGID_Y_EN: 0
; COMPUTE_PGM_RSRC2:TGID_Z_EN: 0
; COMPUTE_PGM_RSRC2:TIDIG_COMP_CNT: 0
	.section	.text._ZN9rocsolver6v33100L13conj_in_placeIdiPKPdTnNSt9enable_ifIXnt18rocblas_is_complexIT_EEiE4typeELi0EEEvT0_S9_T1_lS9_l,"axG",@progbits,_ZN9rocsolver6v33100L13conj_in_placeIdiPKPdTnNSt9enable_ifIXnt18rocblas_is_complexIT_EEiE4typeELi0EEEvT0_S9_T1_lS9_l,comdat
	.globl	_ZN9rocsolver6v33100L13conj_in_placeIdiPKPdTnNSt9enable_ifIXnt18rocblas_is_complexIT_EEiE4typeELi0EEEvT0_S9_T1_lS9_l ; -- Begin function _ZN9rocsolver6v33100L13conj_in_placeIdiPKPdTnNSt9enable_ifIXnt18rocblas_is_complexIT_EEiE4typeELi0EEEvT0_S9_T1_lS9_l
	.p2align	8
	.type	_ZN9rocsolver6v33100L13conj_in_placeIdiPKPdTnNSt9enable_ifIXnt18rocblas_is_complexIT_EEiE4typeELi0EEEvT0_S9_T1_lS9_l,@function
_ZN9rocsolver6v33100L13conj_in_placeIdiPKPdTnNSt9enable_ifIXnt18rocblas_is_complexIT_EEiE4typeELi0EEEvT0_S9_T1_lS9_l: ; @_ZN9rocsolver6v33100L13conj_in_placeIdiPKPdTnNSt9enable_ifIXnt18rocblas_is_complexIT_EEiE4typeELi0EEEvT0_S9_T1_lS9_l
; %bb.0:
	s_endpgm
	.section	.rodata,"a",@progbits
	.p2align	6, 0x0
	.amdhsa_kernel _ZN9rocsolver6v33100L13conj_in_placeIdiPKPdTnNSt9enable_ifIXnt18rocblas_is_complexIT_EEiE4typeELi0EEEvT0_S9_T1_lS9_l
		.amdhsa_group_segment_fixed_size 0
		.amdhsa_private_segment_fixed_size 0
		.amdhsa_kernarg_size 40
		.amdhsa_user_sgpr_count 6
		.amdhsa_user_sgpr_private_segment_buffer 1
		.amdhsa_user_sgpr_dispatch_ptr 0
		.amdhsa_user_sgpr_queue_ptr 0
		.amdhsa_user_sgpr_kernarg_segment_ptr 1
		.amdhsa_user_sgpr_dispatch_id 0
		.amdhsa_user_sgpr_flat_scratch_init 0
		.amdhsa_user_sgpr_private_segment_size 0
		.amdhsa_uses_dynamic_stack 0
		.amdhsa_system_sgpr_private_segment_wavefront_offset 0
		.amdhsa_system_sgpr_workgroup_id_x 1
		.amdhsa_system_sgpr_workgroup_id_y 0
		.amdhsa_system_sgpr_workgroup_id_z 0
		.amdhsa_system_sgpr_workgroup_info 0
		.amdhsa_system_vgpr_workitem_id 0
		.amdhsa_next_free_vgpr 1
		.amdhsa_next_free_sgpr 0
		.amdhsa_reserve_vcc 0
		.amdhsa_reserve_flat_scratch 0
		.amdhsa_float_round_mode_32 0
		.amdhsa_float_round_mode_16_64 0
		.amdhsa_float_denorm_mode_32 3
		.amdhsa_float_denorm_mode_16_64 3
		.amdhsa_dx10_clamp 1
		.amdhsa_ieee_mode 1
		.amdhsa_fp16_overflow 0
		.amdhsa_exception_fp_ieee_invalid_op 0
		.amdhsa_exception_fp_denorm_src 0
		.amdhsa_exception_fp_ieee_div_zero 0
		.amdhsa_exception_fp_ieee_overflow 0
		.amdhsa_exception_fp_ieee_underflow 0
		.amdhsa_exception_fp_ieee_inexact 0
		.amdhsa_exception_int_div_zero 0
	.end_amdhsa_kernel
	.section	.text._ZN9rocsolver6v33100L13conj_in_placeIdiPKPdTnNSt9enable_ifIXnt18rocblas_is_complexIT_EEiE4typeELi0EEEvT0_S9_T1_lS9_l,"axG",@progbits,_ZN9rocsolver6v33100L13conj_in_placeIdiPKPdTnNSt9enable_ifIXnt18rocblas_is_complexIT_EEiE4typeELi0EEEvT0_S9_T1_lS9_l,comdat
.Lfunc_end16:
	.size	_ZN9rocsolver6v33100L13conj_in_placeIdiPKPdTnNSt9enable_ifIXnt18rocblas_is_complexIT_EEiE4typeELi0EEEvT0_S9_T1_lS9_l, .Lfunc_end16-_ZN9rocsolver6v33100L13conj_in_placeIdiPKPdTnNSt9enable_ifIXnt18rocblas_is_complexIT_EEiE4typeELi0EEEvT0_S9_T1_lS9_l
                                        ; -- End function
	.set _ZN9rocsolver6v33100L13conj_in_placeIdiPKPdTnNSt9enable_ifIXnt18rocblas_is_complexIT_EEiE4typeELi0EEEvT0_S9_T1_lS9_l.num_vgpr, 0
	.set _ZN9rocsolver6v33100L13conj_in_placeIdiPKPdTnNSt9enable_ifIXnt18rocblas_is_complexIT_EEiE4typeELi0EEEvT0_S9_T1_lS9_l.num_agpr, 0
	.set _ZN9rocsolver6v33100L13conj_in_placeIdiPKPdTnNSt9enable_ifIXnt18rocblas_is_complexIT_EEiE4typeELi0EEEvT0_S9_T1_lS9_l.numbered_sgpr, 0
	.set _ZN9rocsolver6v33100L13conj_in_placeIdiPKPdTnNSt9enable_ifIXnt18rocblas_is_complexIT_EEiE4typeELi0EEEvT0_S9_T1_lS9_l.num_named_barrier, 0
	.set _ZN9rocsolver6v33100L13conj_in_placeIdiPKPdTnNSt9enable_ifIXnt18rocblas_is_complexIT_EEiE4typeELi0EEEvT0_S9_T1_lS9_l.private_seg_size, 0
	.set _ZN9rocsolver6v33100L13conj_in_placeIdiPKPdTnNSt9enable_ifIXnt18rocblas_is_complexIT_EEiE4typeELi0EEEvT0_S9_T1_lS9_l.uses_vcc, 0
	.set _ZN9rocsolver6v33100L13conj_in_placeIdiPKPdTnNSt9enable_ifIXnt18rocblas_is_complexIT_EEiE4typeELi0EEEvT0_S9_T1_lS9_l.uses_flat_scratch, 0
	.set _ZN9rocsolver6v33100L13conj_in_placeIdiPKPdTnNSt9enable_ifIXnt18rocblas_is_complexIT_EEiE4typeELi0EEEvT0_S9_T1_lS9_l.has_dyn_sized_stack, 0
	.set _ZN9rocsolver6v33100L13conj_in_placeIdiPKPdTnNSt9enable_ifIXnt18rocblas_is_complexIT_EEiE4typeELi0EEEvT0_S9_T1_lS9_l.has_recursion, 0
	.set _ZN9rocsolver6v33100L13conj_in_placeIdiPKPdTnNSt9enable_ifIXnt18rocblas_is_complexIT_EEiE4typeELi0EEEvT0_S9_T1_lS9_l.has_indirect_call, 0
	.section	.AMDGPU.csdata,"",@progbits
; Kernel info:
; codeLenInByte = 4
; TotalNumSgprs: 4
; NumVgprs: 0
; ScratchSize: 0
; MemoryBound: 0
; FloatMode: 240
; IeeeMode: 1
; LDSByteSize: 0 bytes/workgroup (compile time only)
; SGPRBlocks: 0
; VGPRBlocks: 0
; NumSGPRsForWavesPerEU: 4
; NumVGPRsForWavesPerEU: 1
; Occupancy: 10
; WaveLimiterHint : 0
; COMPUTE_PGM_RSRC2:SCRATCH_EN: 0
; COMPUTE_PGM_RSRC2:USER_SGPR: 6
; COMPUTE_PGM_RSRC2:TRAP_HANDLER: 0
; COMPUTE_PGM_RSRC2:TGID_X_EN: 1
; COMPUTE_PGM_RSRC2:TGID_Y_EN: 0
; COMPUTE_PGM_RSRC2:TGID_Z_EN: 0
; COMPUTE_PGM_RSRC2:TIDIG_COMP_CNT: 0
	.section	.text._ZN9rocsolver6v33100L16reset_batch_infoIdiiPdEEvT2_lT0_T1_,"axG",@progbits,_ZN9rocsolver6v33100L16reset_batch_infoIdiiPdEEvT2_lT0_T1_,comdat
	.globl	_ZN9rocsolver6v33100L16reset_batch_infoIdiiPdEEvT2_lT0_T1_ ; -- Begin function _ZN9rocsolver6v33100L16reset_batch_infoIdiiPdEEvT2_lT0_T1_
	.p2align	8
	.type	_ZN9rocsolver6v33100L16reset_batch_infoIdiiPdEEvT2_lT0_T1_,@function
_ZN9rocsolver6v33100L16reset_batch_infoIdiiPdEEvT2_lT0_T1_: ; @_ZN9rocsolver6v33100L16reset_batch_infoIdiiPdEEvT2_lT0_T1_
; %bb.0:
	s_load_dword s2, s[4:5], 0x24
	s_load_dwordx2 s[0:1], s[4:5], 0x10
	s_waitcnt lgkmcnt(0)
	s_and_b32 s2, s2, 0xffff
	s_mul_i32 s6, s6, s2
	v_add_u32_e32 v0, s6, v0
	v_cmp_gt_i32_e32 vcc, s0, v0
	s_and_saveexec_b64 s[2:3], vcc
	s_cbranch_execz .LBB17_2
; %bb.1:
	s_load_dwordx4 s[8:11], s[4:5], 0x0
	s_ashr_i32 s0, s7, 31
	v_ashrrev_i32_e32 v1, 31, v0
	v_lshlrev_b64 v[0:1], 3, v[0:1]
	v_cvt_f64_i32_e32 v[2:3], s1
	s_waitcnt lgkmcnt(0)
	s_mul_hi_u32 s3, s10, s7
	s_mul_i32 s0, s10, s0
	s_mul_i32 s4, s11, s7
	s_add_i32 s0, s3, s0
	s_mul_i32 s2, s10, s7
	s_add_i32 s3, s0, s4
	s_lshl_b64 s[2:3], s[2:3], 3
	s_add_u32 s0, s8, s2
	s_addc_u32 s2, s9, s3
	v_mov_b32_e32 v4, s2
	v_add_co_u32_e32 v0, vcc, s0, v0
	v_addc_co_u32_e32 v1, vcc, v4, v1, vcc
	global_store_dwordx2 v[0:1], v[2:3], off
.LBB17_2:
	s_endpgm
	.section	.rodata,"a",@progbits
	.p2align	6, 0x0
	.amdhsa_kernel _ZN9rocsolver6v33100L16reset_batch_infoIdiiPdEEvT2_lT0_T1_
		.amdhsa_group_segment_fixed_size 0
		.amdhsa_private_segment_fixed_size 0
		.amdhsa_kernarg_size 280
		.amdhsa_user_sgpr_count 6
		.amdhsa_user_sgpr_private_segment_buffer 1
		.amdhsa_user_sgpr_dispatch_ptr 0
		.amdhsa_user_sgpr_queue_ptr 0
		.amdhsa_user_sgpr_kernarg_segment_ptr 1
		.amdhsa_user_sgpr_dispatch_id 0
		.amdhsa_user_sgpr_flat_scratch_init 0
		.amdhsa_user_sgpr_private_segment_size 0
		.amdhsa_uses_dynamic_stack 0
		.amdhsa_system_sgpr_private_segment_wavefront_offset 0
		.amdhsa_system_sgpr_workgroup_id_x 1
		.amdhsa_system_sgpr_workgroup_id_y 1
		.amdhsa_system_sgpr_workgroup_id_z 0
		.amdhsa_system_sgpr_workgroup_info 0
		.amdhsa_system_vgpr_workitem_id 0
		.amdhsa_next_free_vgpr 5
		.amdhsa_next_free_sgpr 12
		.amdhsa_reserve_vcc 1
		.amdhsa_reserve_flat_scratch 0
		.amdhsa_float_round_mode_32 0
		.amdhsa_float_round_mode_16_64 0
		.amdhsa_float_denorm_mode_32 3
		.amdhsa_float_denorm_mode_16_64 3
		.amdhsa_dx10_clamp 1
		.amdhsa_ieee_mode 1
		.amdhsa_fp16_overflow 0
		.amdhsa_exception_fp_ieee_invalid_op 0
		.amdhsa_exception_fp_denorm_src 0
		.amdhsa_exception_fp_ieee_div_zero 0
		.amdhsa_exception_fp_ieee_overflow 0
		.amdhsa_exception_fp_ieee_underflow 0
		.amdhsa_exception_fp_ieee_inexact 0
		.amdhsa_exception_int_div_zero 0
	.end_amdhsa_kernel
	.section	.text._ZN9rocsolver6v33100L16reset_batch_infoIdiiPdEEvT2_lT0_T1_,"axG",@progbits,_ZN9rocsolver6v33100L16reset_batch_infoIdiiPdEEvT2_lT0_T1_,comdat
.Lfunc_end17:
	.size	_ZN9rocsolver6v33100L16reset_batch_infoIdiiPdEEvT2_lT0_T1_, .Lfunc_end17-_ZN9rocsolver6v33100L16reset_batch_infoIdiiPdEEvT2_lT0_T1_
                                        ; -- End function
	.set _ZN9rocsolver6v33100L16reset_batch_infoIdiiPdEEvT2_lT0_T1_.num_vgpr, 5
	.set _ZN9rocsolver6v33100L16reset_batch_infoIdiiPdEEvT2_lT0_T1_.num_agpr, 0
	.set _ZN9rocsolver6v33100L16reset_batch_infoIdiiPdEEvT2_lT0_T1_.numbered_sgpr, 12
	.set _ZN9rocsolver6v33100L16reset_batch_infoIdiiPdEEvT2_lT0_T1_.num_named_barrier, 0
	.set _ZN9rocsolver6v33100L16reset_batch_infoIdiiPdEEvT2_lT0_T1_.private_seg_size, 0
	.set _ZN9rocsolver6v33100L16reset_batch_infoIdiiPdEEvT2_lT0_T1_.uses_vcc, 1
	.set _ZN9rocsolver6v33100L16reset_batch_infoIdiiPdEEvT2_lT0_T1_.uses_flat_scratch, 0
	.set _ZN9rocsolver6v33100L16reset_batch_infoIdiiPdEEvT2_lT0_T1_.has_dyn_sized_stack, 0
	.set _ZN9rocsolver6v33100L16reset_batch_infoIdiiPdEEvT2_lT0_T1_.has_recursion, 0
	.set _ZN9rocsolver6v33100L16reset_batch_infoIdiiPdEEvT2_lT0_T1_.has_indirect_call, 0
	.section	.AMDGPU.csdata,"",@progbits
; Kernel info:
; codeLenInByte = 140
; TotalNumSgprs: 16
; NumVgprs: 5
; ScratchSize: 0
; MemoryBound: 0
; FloatMode: 240
; IeeeMode: 1
; LDSByteSize: 0 bytes/workgroup (compile time only)
; SGPRBlocks: 1
; VGPRBlocks: 1
; NumSGPRsForWavesPerEU: 16
; NumVGPRsForWavesPerEU: 5
; Occupancy: 10
; WaveLimiterHint : 0
; COMPUTE_PGM_RSRC2:SCRATCH_EN: 0
; COMPUTE_PGM_RSRC2:USER_SGPR: 6
; COMPUTE_PGM_RSRC2:TRAP_HANDLER: 0
; COMPUTE_PGM_RSRC2:TGID_X_EN: 1
; COMPUTE_PGM_RSRC2:TGID_Y_EN: 1
; COMPUTE_PGM_RSRC2:TGID_Z_EN: 0
; COMPUTE_PGM_RSRC2:TIDIG_COMP_CNT: 0
	.section	.text._ZN9rocsolver6v33100L11set_taubetaIdidPKPdEEvPT_lS6_T2_llPT1_ll,"axG",@progbits,_ZN9rocsolver6v33100L11set_taubetaIdidPKPdEEvPT_lS6_T2_llPT1_ll,comdat
	.globl	_ZN9rocsolver6v33100L11set_taubetaIdidPKPdEEvPT_lS6_T2_llPT1_ll ; -- Begin function _ZN9rocsolver6v33100L11set_taubetaIdidPKPdEEvPT_lS6_T2_llPT1_ll
	.p2align	8
	.type	_ZN9rocsolver6v33100L11set_taubetaIdidPKPdEEvPT_lS6_T2_llPT1_ll,@function
_ZN9rocsolver6v33100L11set_taubetaIdidPKPdEEvPT_lS6_T2_llPT1_ll: ; @_ZN9rocsolver6v33100L11set_taubetaIdidPKPdEEvPT_lS6_T2_llPT1_ll
; %bb.0:
	s_load_dwordx8 s[8:15], s[4:5], 0x0
	s_load_dwordx2 s[20:21], s[4:5], 0x20
	s_load_dwordx4 s[0:3], s[4:5], 0x30
	s_ashr_i32 s7, s6, 31
	s_lshl_b64 s[18:19], s[6:7], 3
	s_waitcnt lgkmcnt(0)
	s_add_u32 s14, s14, s18
	s_addc_u32 s15, s15, s19
	s_load_dwordx2 s[22:23], s[14:15], 0x0
	s_mov_b64 s[16:17], 0
	s_cmp_eq_u64 s[0:1], 0
	s_mov_b64 s[14:15], 0
	s_cbranch_scc1 .LBB18_2
; %bb.1:
	s_load_dwordx2 s[4:5], s[4:5], 0x40
	s_waitcnt lgkmcnt(0)
	s_mul_i32 s14, s4, s7
	s_mul_hi_u32 s15, s4, s6
	s_mul_i32 s5, s5, s6
	s_add_i32 s14, s15, s14
	s_mul_i32 s4, s4, s6
	s_add_i32 s5, s14, s5
	s_lshl_b64 s[4:5], s[4:5], 3
	s_add_u32 s4, s0, s4
	s_addc_u32 s5, s1, s5
	s_lshl_b64 s[0:1], s[2:3], 3
	s_add_u32 s14, s4, s0
	s_addc_u32 s15, s5, s1
.LBB18_2:
	s_lshl_b64 s[0:1], s[20:21], 3
	s_waitcnt lgkmcnt(0)
	s_add_u32 s0, s22, s0
	s_mul_i32 s2, s10, s7
	s_mul_hi_u32 s3, s10, s6
	s_addc_u32 s1, s23, s1
	s_add_i32 s2, s3, s2
	s_mul_i32 s3, s11, s6
	s_add_i32 s3, s2, s3
	s_mul_i32 s2, s10, s6
	s_lshl_b64 s[2:3], s[2:3], 3
	s_add_u32 s2, s8, s2
	s_addc_u32 s3, s9, s3
	s_add_u32 s8, s12, s18
	s_addc_u32 s9, s13, s19
	s_load_dwordx2 s[10:11], s[8:9], 0x0
	s_cmp_eq_u64 s[14:15], 0
	s_cselect_b64 s[4:5], -1, 0
	s_cmp_lg_u64 s[14:15], 0
	s_cselect_b64 s[6:7], -1, 0
	s_waitcnt lgkmcnt(0)
	v_cmp_ngt_f64_e64 s[12:13], s[10:11], 0
	s_and_b64 vcc, exec, s[12:13]
	s_cbranch_vccz .LBB18_8
; %bb.3:
	v_mov_b32_e32 v0, 0
	v_mov_b32_e32 v1, 0x3ff00000
	global_store_dwordx2 v0, v[0:1], s[8:9]
	v_mov_b32_e32 v1, v0
	s_mov_b64 s[18:19], 0
	s_and_b64 vcc, exec, s[6:7]
	s_mov_b64 s[12:13], 0
	global_store_dwordx2 v0, v[0:1], s[2:3]
                                        ; implicit-def: $vgpr0_vgpr1
	s_cbranch_vccnz .LBB18_9
; %bb.4:
	s_and_b64 vcc, exec, s[18:19]
	s_cbranch_vccnz .LBB18_10
.LBB18_5:
	s_andn2_b64 vcc, exec, s[12:13]
	s_cbranch_vccz .LBB18_11
.LBB18_6:
	s_andn2_b64 vcc, exec, s[16:17]
	s_cbranch_vccz .LBB18_12
; %bb.7:
	s_endpgm
.LBB18_8:
                                        ; implicit-def: $vgpr0_vgpr1
	s_mov_b64 s[12:13], 0
	s_cbranch_execz .LBB18_5
	s_branch .LBB18_10
.LBB18_9:
	v_mov_b32_e32 v0, s0
	v_mov_b32_e32 v1, s1
	flat_load_dwordx2 v[0:1], v[0:1]
	s_mov_b64 s[12:13], -1
	s_and_b64 vcc, exec, s[18:19]
	s_cbranch_vccz .LBB18_5
.LBB18_10:
	v_mov_b32_e32 v3, s1
	v_mov_b32_e32 v2, s0
	flat_load_dwordx2 v[4:5], v[2:3]
	v_mov_b32_e32 v6, 0x100
	s_mov_b64 s[16:17], s[4:5]
	s_mov_b64 s[12:13], s[6:7]
	s_waitcnt vmcnt(0) lgkmcnt(0)
	v_fma_f64 v[0:1], v[4:5], v[4:5], s[10:11]
	s_mov_b32 s10, 0
	s_brev_b32 s11, 8
	v_cmp_gt_f64_e32 vcc, s[10:11], v[0:1]
	v_cndmask_b32_e32 v6, 0, v6, vcc
	v_ldexp_f64 v[0:1], v[0:1], v6
	v_rsq_f64_e32 v[6:7], v[0:1]
	v_mul_f64 v[8:9], v[0:1], v[6:7]
	v_mul_f64 v[6:7], v[6:7], 0.5
	v_fma_f64 v[10:11], -v[6:7], v[8:9], 0.5
	v_fma_f64 v[8:9], v[8:9], v[10:11], v[8:9]
	v_fma_f64 v[6:7], v[6:7], v[10:11], v[6:7]
	v_fma_f64 v[10:11], -v[8:9], v[8:9], v[0:1]
	v_fma_f64 v[8:9], v[10:11], v[6:7], v[8:9]
	v_fma_f64 v[10:11], -v[8:9], v[8:9], v[0:1]
	v_fma_f64 v[6:7], v[10:11], v[6:7], v[8:9]
	v_mov_b32_e32 v8, 0xffffff80
	v_mov_b32_e32 v9, 0x260
	v_cndmask_b32_e32 v8, 0, v8, vcc
	v_cmp_class_f64_e32 vcc, v[0:1], v9
	v_ldexp_f64 v[6:7], v[6:7], v8
	v_cndmask_b32_e32 v0, v6, v0, vcc
	v_cndmask_b32_e32 v1, v7, v1, vcc
	v_cmp_le_f64_e32 vcc, 0, v[4:5]
	v_xor_b32_e32 v6, 0x80000000, v1
	v_cndmask_b32_e32 v1, v1, v6, vcc
	v_add_f64 v[4:5], v[4:5], -v[0:1]
	v_div_scale_f64 v[6:7], s[10:11], v[4:5], v[4:5], 1.0
	v_rcp_f64_e32 v[8:9], v[6:7]
	v_fma_f64 v[10:11], -v[6:7], v[8:9], 1.0
	v_fma_f64 v[8:9], v[8:9], v[10:11], v[8:9]
	v_div_scale_f64 v[10:11], vcc, 1.0, v[4:5], 1.0
	v_fma_f64 v[12:13], -v[6:7], v[8:9], 1.0
	v_fma_f64 v[8:9], v[8:9], v[12:13], v[8:9]
	v_mul_f64 v[12:13], v[10:11], v[8:9]
	v_fma_f64 v[6:7], -v[6:7], v[12:13], v[10:11]
	v_div_fmas_f64 v[6:7], v[6:7], v[8:9], v[12:13]
	v_mov_b32_e32 v12, 0
	v_div_fixup_f64 v[4:5], v[6:7], v[4:5], 1.0
	global_store_dwordx2 v12, v[4:5], s[8:9]
	flat_load_dwordx2 v[2:3], v[2:3]
	s_waitcnt vmcnt(0) lgkmcnt(0)
	v_add_f64 v[2:3], v[0:1], -v[2:3]
	v_div_scale_f64 v[4:5], s[8:9], v[0:1], v[0:1], v[2:3]
	v_rcp_f64_e32 v[6:7], v[4:5]
	v_fma_f64 v[8:9], -v[4:5], v[6:7], 1.0
	v_fma_f64 v[6:7], v[6:7], v[8:9], v[6:7]
	v_div_scale_f64 v[8:9], vcc, v[2:3], v[0:1], v[2:3]
	v_fma_f64 v[10:11], -v[4:5], v[6:7], 1.0
	v_fma_f64 v[6:7], v[6:7], v[10:11], v[6:7]
	v_mul_f64 v[10:11], v[8:9], v[6:7]
	v_fma_f64 v[4:5], -v[4:5], v[10:11], v[8:9]
	v_div_fmas_f64 v[4:5], v[4:5], v[6:7], v[10:11]
	v_div_fixup_f64 v[2:3], v[4:5], v[0:1], v[2:3]
	global_store_dwordx2 v12, v[2:3], s[2:3]
	s_andn2_b64 vcc, exec, s[12:13]
	s_cbranch_vccnz .LBB18_6
.LBB18_11:
	v_mov_b32_e32 v2, 0
	s_waitcnt vmcnt(0) lgkmcnt(0)
	global_store_dwordx2 v2, v[0:1], s[14:15]
	v_mov_b32_e32 v0, 0
	v_mov_b32_e32 v1, 0x3ff00000
.LBB18_12:
	v_mov_b32_e32 v3, s1
	v_mov_b32_e32 v2, s0
	s_waitcnt vmcnt(0) lgkmcnt(0)
	flat_store_dwordx2 v[2:3], v[0:1]
	s_endpgm
	.section	.rodata,"a",@progbits
	.p2align	6, 0x0
	.amdhsa_kernel _ZN9rocsolver6v33100L11set_taubetaIdidPKPdEEvPT_lS6_T2_llPT1_ll
		.amdhsa_group_segment_fixed_size 0
		.amdhsa_private_segment_fixed_size 0
		.amdhsa_kernarg_size 72
		.amdhsa_user_sgpr_count 6
		.amdhsa_user_sgpr_private_segment_buffer 1
		.amdhsa_user_sgpr_dispatch_ptr 0
		.amdhsa_user_sgpr_queue_ptr 0
		.amdhsa_user_sgpr_kernarg_segment_ptr 1
		.amdhsa_user_sgpr_dispatch_id 0
		.amdhsa_user_sgpr_flat_scratch_init 0
		.amdhsa_user_sgpr_private_segment_size 0
		.amdhsa_uses_dynamic_stack 0
		.amdhsa_system_sgpr_private_segment_wavefront_offset 0
		.amdhsa_system_sgpr_workgroup_id_x 1
		.amdhsa_system_sgpr_workgroup_id_y 0
		.amdhsa_system_sgpr_workgroup_id_z 0
		.amdhsa_system_sgpr_workgroup_info 0
		.amdhsa_system_vgpr_workitem_id 0
		.amdhsa_next_free_vgpr 14
		.amdhsa_next_free_sgpr 24
		.amdhsa_reserve_vcc 1
		.amdhsa_reserve_flat_scratch 0
		.amdhsa_float_round_mode_32 0
		.amdhsa_float_round_mode_16_64 0
		.amdhsa_float_denorm_mode_32 3
		.amdhsa_float_denorm_mode_16_64 3
		.amdhsa_dx10_clamp 1
		.amdhsa_ieee_mode 1
		.amdhsa_fp16_overflow 0
		.amdhsa_exception_fp_ieee_invalid_op 0
		.amdhsa_exception_fp_denorm_src 0
		.amdhsa_exception_fp_ieee_div_zero 0
		.amdhsa_exception_fp_ieee_overflow 0
		.amdhsa_exception_fp_ieee_underflow 0
		.amdhsa_exception_fp_ieee_inexact 0
		.amdhsa_exception_int_div_zero 0
	.end_amdhsa_kernel
	.section	.text._ZN9rocsolver6v33100L11set_taubetaIdidPKPdEEvPT_lS6_T2_llPT1_ll,"axG",@progbits,_ZN9rocsolver6v33100L11set_taubetaIdidPKPdEEvPT_lS6_T2_llPT1_ll,comdat
.Lfunc_end18:
	.size	_ZN9rocsolver6v33100L11set_taubetaIdidPKPdEEvPT_lS6_T2_llPT1_ll, .Lfunc_end18-_ZN9rocsolver6v33100L11set_taubetaIdidPKPdEEvPT_lS6_T2_llPT1_ll
                                        ; -- End function
	.set _ZN9rocsolver6v33100L11set_taubetaIdidPKPdEEvPT_lS6_T2_llPT1_ll.num_vgpr, 14
	.set _ZN9rocsolver6v33100L11set_taubetaIdidPKPdEEvPT_lS6_T2_llPT1_ll.num_agpr, 0
	.set _ZN9rocsolver6v33100L11set_taubetaIdidPKPdEEvPT_lS6_T2_llPT1_ll.numbered_sgpr, 24
	.set _ZN9rocsolver6v33100L11set_taubetaIdidPKPdEEvPT_lS6_T2_llPT1_ll.num_named_barrier, 0
	.set _ZN9rocsolver6v33100L11set_taubetaIdidPKPdEEvPT_lS6_T2_llPT1_ll.private_seg_size, 0
	.set _ZN9rocsolver6v33100L11set_taubetaIdidPKPdEEvPT_lS6_T2_llPT1_ll.uses_vcc, 1
	.set _ZN9rocsolver6v33100L11set_taubetaIdidPKPdEEvPT_lS6_T2_llPT1_ll.uses_flat_scratch, 0
	.set _ZN9rocsolver6v33100L11set_taubetaIdidPKPdEEvPT_lS6_T2_llPT1_ll.has_dyn_sized_stack, 0
	.set _ZN9rocsolver6v33100L11set_taubetaIdidPKPdEEvPT_lS6_T2_llPT1_ll.has_recursion, 0
	.set _ZN9rocsolver6v33100L11set_taubetaIdidPKPdEEvPT_lS6_T2_llPT1_ll.has_indirect_call, 0
	.section	.AMDGPU.csdata,"",@progbits
; Kernel info:
; codeLenInByte = 824
; TotalNumSgprs: 28
; NumVgprs: 14
; ScratchSize: 0
; MemoryBound: 0
; FloatMode: 240
; IeeeMode: 1
; LDSByteSize: 0 bytes/workgroup (compile time only)
; SGPRBlocks: 3
; VGPRBlocks: 3
; NumSGPRsForWavesPerEU: 28
; NumVGPRsForWavesPerEU: 14
; Occupancy: 10
; WaveLimiterHint : 1
; COMPUTE_PGM_RSRC2:SCRATCH_EN: 0
; COMPUTE_PGM_RSRC2:USER_SGPR: 6
; COMPUTE_PGM_RSRC2:TRAP_HANDLER: 0
; COMPUTE_PGM_RSRC2:TGID_X_EN: 1
; COMPUTE_PGM_RSRC2:TGID_Y_EN: 0
; COMPUTE_PGM_RSRC2:TGID_Z_EN: 0
; COMPUTE_PGM_RSRC2:TIDIG_COMP_CNT: 0
	.section	.text._ZN9rocsolver6v33100L8set_diagIdidPKPdTnNSt9enable_ifIXoont18rocblas_is_complexIT_E18rocblas_is_complexIT1_EEiE4typeELi0EEEvPS7_llT2_lT0_lSC_b,"axG",@progbits,_ZN9rocsolver6v33100L8set_diagIdidPKPdTnNSt9enable_ifIXoont18rocblas_is_complexIT_E18rocblas_is_complexIT1_EEiE4typeELi0EEEvPS7_llT2_lT0_lSC_b,comdat
	.globl	_ZN9rocsolver6v33100L8set_diagIdidPKPdTnNSt9enable_ifIXoont18rocblas_is_complexIT_E18rocblas_is_complexIT1_EEiE4typeELi0EEEvPS7_llT2_lT0_lSC_b ; -- Begin function _ZN9rocsolver6v33100L8set_diagIdidPKPdTnNSt9enable_ifIXoont18rocblas_is_complexIT_E18rocblas_is_complexIT1_EEiE4typeELi0EEEvPS7_llT2_lT0_lSC_b
	.p2align	8
	.type	_ZN9rocsolver6v33100L8set_diagIdidPKPdTnNSt9enable_ifIXoont18rocblas_is_complexIT_E18rocblas_is_complexIT1_EEiE4typeELi0EEEvPS7_llT2_lT0_lSC_b,@function
_ZN9rocsolver6v33100L8set_diagIdidPKPdTnNSt9enable_ifIXoont18rocblas_is_complexIT_E18rocblas_is_complexIT1_EEiE4typeELi0EEEvPS7_llT2_lT0_lSC_b: ; @_ZN9rocsolver6v33100L8set_diagIdidPKPdTnNSt9enable_ifIXoont18rocblas_is_complexIT_E18rocblas_is_complexIT1_EEiE4typeELi0EEEvPS7_llT2_lT0_lSC_b
; %bb.0:
	s_load_dword s2, s[4:5], 0x4c
	s_load_dwordx2 s[0:1], s[4:5], 0x38
	s_waitcnt lgkmcnt(0)
	s_lshr_b32 s2, s2, 16
	s_mul_i32 s7, s7, s2
	v_add_u32_e32 v0, s7, v1
	v_cmp_gt_i32_e32 vcc, s0, v0
	s_and_saveexec_b64 s[2:3], vcc
	s_cbranch_execz .LBB19_2
; %bb.1:
	s_load_dwordx8 s[8:15], s[4:5], 0x0
	s_load_dwordx2 s[2:3], s[4:5], 0x20
	s_load_dword s16, s[4:5], 0x28
	s_bitcmp1_b32 s1, 0
	s_cselect_b64 vcc, -1, 0
	s_ashr_i32 s7, s6, 31
	s_lshl_b64 s[0:1], s[6:7], 3
	s_waitcnt lgkmcnt(0)
	s_add_u32 s0, s14, s0
	s_addc_u32 s1, s15, s1
	s_load_dwordx2 s[0:1], s[0:1], 0x0
	v_mad_u64_u32 v[1:2], s[4:5], v0, s16, v[0:1]
	s_lshl_b64 s[2:3], s[2:3], 3
	v_mov_b32_e32 v7, 0x3ff00000
	v_ashrrev_i32_e32 v2, 31, v1
	s_waitcnt lgkmcnt(0)
	s_add_u32 s0, s0, s2
	v_lshlrev_b64 v[1:2], 3, v[1:2]
	s_addc_u32 s1, s1, s3
	v_mov_b32_e32 v4, s1
	v_add_co_u32_e64 v3, s[0:1], s0, v1
	v_addc_co_u32_e64 v4, s[0:1], v4, v2, s[0:1]
	flat_load_dwordx2 v[5:6], v[3:4]
	s_mul_hi_u32 s1, s12, s6
	s_mul_i32 s2, s12, s7
	s_mul_i32 s3, s13, s6
	s_add_i32 s1, s1, s2
	s_mul_i32 s0, s12, s6
	s_add_i32 s1, s1, s3
	s_lshl_b64 s[0:1], s[0:1], 3
	s_add_u32 s2, s8, s0
	v_ashrrev_i32_e32 v1, 31, v0
	s_addc_u32 s3, s9, s1
	s_lshl_b64 s[0:1], s[10:11], 3
	v_lshlrev_b64 v[0:1], 3, v[0:1]
	s_add_u32 s0, s2, s0
	s_addc_u32 s1, s3, s1
	v_mov_b32_e32 v2, s1
	v_add_co_u32_e64 v0, s[0:1], s0, v0
	v_addc_co_u32_e64 v1, s[0:1], v2, v1, s[0:1]
	s_waitcnt vmcnt(0) lgkmcnt(0)
	global_store_dwordx2 v[0:1], v[5:6], off
	v_cndmask_b32_e32 v1, v6, v7, vcc
	v_cndmask_b32_e64 v0, v5, 0, vcc
	flat_store_dwordx2 v[3:4], v[0:1]
.LBB19_2:
	s_endpgm
	.section	.rodata,"a",@progbits
	.p2align	6, 0x0
	.amdhsa_kernel _ZN9rocsolver6v33100L8set_diagIdidPKPdTnNSt9enable_ifIXoont18rocblas_is_complexIT_E18rocblas_is_complexIT1_EEiE4typeELi0EEEvPS7_llT2_lT0_lSC_b
		.amdhsa_group_segment_fixed_size 0
		.amdhsa_private_segment_fixed_size 0
		.amdhsa_kernarg_size 320
		.amdhsa_user_sgpr_count 6
		.amdhsa_user_sgpr_private_segment_buffer 1
		.amdhsa_user_sgpr_dispatch_ptr 0
		.amdhsa_user_sgpr_queue_ptr 0
		.amdhsa_user_sgpr_kernarg_segment_ptr 1
		.amdhsa_user_sgpr_dispatch_id 0
		.amdhsa_user_sgpr_flat_scratch_init 0
		.amdhsa_user_sgpr_private_segment_size 0
		.amdhsa_uses_dynamic_stack 0
		.amdhsa_system_sgpr_private_segment_wavefront_offset 0
		.amdhsa_system_sgpr_workgroup_id_x 1
		.amdhsa_system_sgpr_workgroup_id_y 1
		.amdhsa_system_sgpr_workgroup_id_z 0
		.amdhsa_system_sgpr_workgroup_info 0
		.amdhsa_system_vgpr_workitem_id 1
		.amdhsa_next_free_vgpr 8
		.amdhsa_next_free_sgpr 17
		.amdhsa_reserve_vcc 1
		.amdhsa_reserve_flat_scratch 0
		.amdhsa_float_round_mode_32 0
		.amdhsa_float_round_mode_16_64 0
		.amdhsa_float_denorm_mode_32 3
		.amdhsa_float_denorm_mode_16_64 3
		.amdhsa_dx10_clamp 1
		.amdhsa_ieee_mode 1
		.amdhsa_fp16_overflow 0
		.amdhsa_exception_fp_ieee_invalid_op 0
		.amdhsa_exception_fp_denorm_src 0
		.amdhsa_exception_fp_ieee_div_zero 0
		.amdhsa_exception_fp_ieee_overflow 0
		.amdhsa_exception_fp_ieee_underflow 0
		.amdhsa_exception_fp_ieee_inexact 0
		.amdhsa_exception_int_div_zero 0
	.end_amdhsa_kernel
	.section	.text._ZN9rocsolver6v33100L8set_diagIdidPKPdTnNSt9enable_ifIXoont18rocblas_is_complexIT_E18rocblas_is_complexIT1_EEiE4typeELi0EEEvPS7_llT2_lT0_lSC_b,"axG",@progbits,_ZN9rocsolver6v33100L8set_diagIdidPKPdTnNSt9enable_ifIXoont18rocblas_is_complexIT_E18rocblas_is_complexIT1_EEiE4typeELi0EEEvPS7_llT2_lT0_lSC_b,comdat
.Lfunc_end19:
	.size	_ZN9rocsolver6v33100L8set_diagIdidPKPdTnNSt9enable_ifIXoont18rocblas_is_complexIT_E18rocblas_is_complexIT1_EEiE4typeELi0EEEvPS7_llT2_lT0_lSC_b, .Lfunc_end19-_ZN9rocsolver6v33100L8set_diagIdidPKPdTnNSt9enable_ifIXoont18rocblas_is_complexIT_E18rocblas_is_complexIT1_EEiE4typeELi0EEEvPS7_llT2_lT0_lSC_b
                                        ; -- End function
	.set _ZN9rocsolver6v33100L8set_diagIdidPKPdTnNSt9enable_ifIXoont18rocblas_is_complexIT_E18rocblas_is_complexIT1_EEiE4typeELi0EEEvPS7_llT2_lT0_lSC_b.num_vgpr, 8
	.set _ZN9rocsolver6v33100L8set_diagIdidPKPdTnNSt9enable_ifIXoont18rocblas_is_complexIT_E18rocblas_is_complexIT1_EEiE4typeELi0EEEvPS7_llT2_lT0_lSC_b.num_agpr, 0
	.set _ZN9rocsolver6v33100L8set_diagIdidPKPdTnNSt9enable_ifIXoont18rocblas_is_complexIT_E18rocblas_is_complexIT1_EEiE4typeELi0EEEvPS7_llT2_lT0_lSC_b.numbered_sgpr, 17
	.set _ZN9rocsolver6v33100L8set_diagIdidPKPdTnNSt9enable_ifIXoont18rocblas_is_complexIT_E18rocblas_is_complexIT1_EEiE4typeELi0EEEvPS7_llT2_lT0_lSC_b.num_named_barrier, 0
	.set _ZN9rocsolver6v33100L8set_diagIdidPKPdTnNSt9enable_ifIXoont18rocblas_is_complexIT_E18rocblas_is_complexIT1_EEiE4typeELi0EEEvPS7_llT2_lT0_lSC_b.private_seg_size, 0
	.set _ZN9rocsolver6v33100L8set_diagIdidPKPdTnNSt9enable_ifIXoont18rocblas_is_complexIT_E18rocblas_is_complexIT1_EEiE4typeELi0EEEvPS7_llT2_lT0_lSC_b.uses_vcc, 1
	.set _ZN9rocsolver6v33100L8set_diagIdidPKPdTnNSt9enable_ifIXoont18rocblas_is_complexIT_E18rocblas_is_complexIT1_EEiE4typeELi0EEEvPS7_llT2_lT0_lSC_b.uses_flat_scratch, 0
	.set _ZN9rocsolver6v33100L8set_diagIdidPKPdTnNSt9enable_ifIXoont18rocblas_is_complexIT_E18rocblas_is_complexIT1_EEiE4typeELi0EEEvPS7_llT2_lT0_lSC_b.has_dyn_sized_stack, 0
	.set _ZN9rocsolver6v33100L8set_diagIdidPKPdTnNSt9enable_ifIXoont18rocblas_is_complexIT_E18rocblas_is_complexIT1_EEiE4typeELi0EEEvPS7_llT2_lT0_lSC_b.has_recursion, 0
	.set _ZN9rocsolver6v33100L8set_diagIdidPKPdTnNSt9enable_ifIXoont18rocblas_is_complexIT_E18rocblas_is_complexIT1_EEiE4typeELi0EEEvPS7_llT2_lT0_lSC_b.has_indirect_call, 0
	.section	.AMDGPU.csdata,"",@progbits
; Kernel info:
; codeLenInByte = 292
; TotalNumSgprs: 21
; NumVgprs: 8
; ScratchSize: 0
; MemoryBound: 0
; FloatMode: 240
; IeeeMode: 1
; LDSByteSize: 0 bytes/workgroup (compile time only)
; SGPRBlocks: 2
; VGPRBlocks: 1
; NumSGPRsForWavesPerEU: 21
; NumVGPRsForWavesPerEU: 8
; Occupancy: 10
; WaveLimiterHint : 1
; COMPUTE_PGM_RSRC2:SCRATCH_EN: 0
; COMPUTE_PGM_RSRC2:USER_SGPR: 6
; COMPUTE_PGM_RSRC2:TRAP_HANDLER: 0
; COMPUTE_PGM_RSRC2:TGID_X_EN: 1
; COMPUTE_PGM_RSRC2:TGID_Y_EN: 1
; COMPUTE_PGM_RSRC2:TGID_Z_EN: 0
; COMPUTE_PGM_RSRC2:TIDIG_COMP_CNT: 1
	.section	.text._ZN9rocsolver6v33100L16larf_left_kernelILi1024EdiPKPdEEvT1_S5_T2_lS5_lPKT0_lS6_lS5_l,"axG",@progbits,_ZN9rocsolver6v33100L16larf_left_kernelILi1024EdiPKPdEEvT1_S5_T2_lS5_lPKT0_lS6_lS5_l,comdat
	.globl	_ZN9rocsolver6v33100L16larf_left_kernelILi1024EdiPKPdEEvT1_S5_T2_lS5_lPKT0_lS6_lS5_l ; -- Begin function _ZN9rocsolver6v33100L16larf_left_kernelILi1024EdiPKPdEEvT1_S5_T2_lS5_lPKT0_lS6_lS5_l
	.p2align	8
	.type	_ZN9rocsolver6v33100L16larf_left_kernelILi1024EdiPKPdEEvT1_S5_T2_lS5_lPKT0_lS6_lS5_l,@function
_ZN9rocsolver6v33100L16larf_left_kernelILi1024EdiPKPdEEvT1_S5_T2_lS5_lPKT0_lS6_lS5_l: ; @_ZN9rocsolver6v33100L16larf_left_kernelILi1024EdiPKPdEEvT1_S5_T2_lS5_lPKT0_lS6_lS5_l
; %bb.0:
	s_load_dwordx8 s[12:19], s[4:5], 0x28
	s_load_dword s20, s[4:5], 0x0
	s_load_dword s6, s[4:5], 0x48
	s_ashr_i32 s9, s8, 31
	s_lshl_b64 s[2:3], s[8:9], 3
	s_waitcnt lgkmcnt(0)
	s_add_u32 s0, s16, s2
	s_addc_u32 s1, s17, s3
	s_load_dwordx2 s[10:11], s[0:1], 0x0
	v_mov_b32_e32 v1, 0
	v_cmp_gt_i32_e64 s[0:1], s20, v0
	v_mov_b32_e32 v2, 0
	s_mul_hi_i32 s17, s7, s6
	s_mul_i32 s16, s7, s6
	s_and_saveexec_b64 s[6:7], s[0:1]
	s_cbranch_execz .LBB20_6
; %bb.1:
	s_load_dword s22, s[4:5], 0x18
	s_load_dwordx4 s[24:27], s[4:5], 0x8
	s_sub_i32 s4, 1, s20
	v_lshl_add_u32 v3, v0, 3, 0
	v_add_u32_e32 v5, 0x80, v3
	s_waitcnt lgkmcnt(0)
	s_ashr_i32 s23, s22, 31
	s_mul_i32 s21, s22, s4
	v_cmp_lt_i64_e64 s[4:5], s[22:23], 1
	v_mad_i64_i32 v[1:2], s[28:29], s22, v0, 0
	s_and_b64 s[4:5], s[4:5], exec
	s_cselect_b32 s4, s21, 0
	s_ashr_i32 s5, s4, 31
	s_add_u32 s2, s24, s2
	s_addc_u32 s3, s25, s3
	s_load_dwordx2 s[2:3], s[2:3], 0x0
	s_lshl_b64 s[24:25], s[26:27], 3
	s_lshl_b64 s[4:5], s[4:5], 3
	v_lshlrev_b64 v[1:2], 3, v[1:2]
	v_mov_b32_e32 v4, v5
	s_waitcnt lgkmcnt(0)
	s_add_u32 s2, s2, s4
	s_addc_u32 s3, s3, s5
	s_add_u32 s2, s2, s24
	s_addc_u32 s3, s3, s25
	v_mov_b32_e32 v3, s3
	v_add_co_u32_e32 v1, vcc, s2, v1
	s_lshl_b64 s[4:5], s[22:23], 13
	v_addc_co_u32_e32 v2, vcc, v3, v2, vcc
	s_mov_b64 s[2:3], 0
	v_mov_b32_e32 v3, s5
	v_mov_b32_e32 v6, v0
.LBB20_2:                               ; =>This Inner Loop Header: Depth=1
	flat_load_dwordx2 v[7:8], v[1:2]
	v_add_co_u32_e32 v1, vcc, s4, v1
	v_add_u32_e32 v6, 0x400, v6
	v_addc_co_u32_e32 v2, vcc, v2, v3, vcc
	v_cmp_le_i32_e32 vcc, s20, v6
	s_or_b64 s[2:3], vcc, s[2:3]
	s_waitcnt vmcnt(0) lgkmcnt(0)
	ds_write_b64 v4, v[7:8]
	v_add_u32_e32 v4, 0x2000, v4
	s_andn2_b64 exec, exec, s[2:3]
	s_cbranch_execnz .LBB20_2
; %bb.3:
	s_or_b64 exec, exec, s[2:3]
	s_lshl_b64 s[2:3], s[16:17], 3
	s_lshl_b64 s[4:5], s[18:19], 3
	s_add_u32 s2, s2, s4
	s_addc_u32 s3, s3, s5
	s_add_u32 s2, s10, s2
	v_lshlrev_b32_e32 v1, 3, v0
	s_addc_u32 s3, s11, s3
	v_mov_b32_e32 v2, s3
	v_add_co_u32_e32 v3, vcc, s2, v1
	v_addc_co_u32_e32 v4, vcc, 0, v2, vcc
	v_mov_b32_e32 v1, 0
	v_mov_b32_e32 v2, 0
	s_mov_b64 s[4:5], 0
	v_mov_b32_e32 v6, v0
.LBB20_4:                               ; =>This Inner Loop Header: Depth=1
	flat_load_dwordx2 v[7:8], v[3:4]
	ds_read_b64 v[9:10], v5
	v_add_u32_e32 v6, 0x400, v6
	v_add_co_u32_e32 v3, vcc, 0x2000, v3
	v_cmp_le_i32_e64 s[2:3], s20, v6
	v_add_u32_e32 v5, 0x2000, v5
	s_or_b64 s[4:5], s[2:3], s[4:5]
	v_addc_co_u32_e32 v4, vcc, 0, v4, vcc
	s_waitcnt vmcnt(0) lgkmcnt(0)
	v_fma_f64 v[1:2], v[7:8], v[9:10], v[1:2]
	s_andn2_b64 exec, exec, s[4:5]
	s_cbranch_execnz .LBB20_4
; %bb.5:
	s_or_b64 exec, exec, s[4:5]
.LBB20_6:
	s_or_b64 exec, exec, s[6:7]
	v_mbcnt_lo_u32_b32 v3, -1, 0
	v_mbcnt_hi_u32_b32 v5, -1, v3
	v_and_b32_e32 v6, 63, v5
	v_cmp_ne_u32_e32 vcc, 63, v6
	v_addc_co_u32_e32 v3, vcc, 0, v5, vcc
	v_lshlrev_b32_e32 v4, 2, v3
	ds_bpermute_b32 v3, v4, v1
	ds_bpermute_b32 v4, v4, v2
	v_cmp_gt_u32_e32 vcc, 62, v6
	s_waitcnt lgkmcnt(0)
	v_add_f64 v[1:2], v[1:2], v[3:4]
	v_cndmask_b32_e64 v3, 0, 2, vcc
	v_add_lshl_u32 v4, v3, v5, 2
	v_cmp_gt_u32_e32 vcc, 60, v6
	ds_bpermute_b32 v3, v4, v1
	ds_bpermute_b32 v4, v4, v2
	s_waitcnt lgkmcnt(0)
	v_add_f64 v[1:2], v[1:2], v[3:4]
	v_cndmask_b32_e64 v3, 0, 4, vcc
	v_add_lshl_u32 v4, v3, v5, 2
	v_cmp_gt_u32_e32 vcc, 56, v6
	ds_bpermute_b32 v3, v4, v1
	ds_bpermute_b32 v4, v4, v2
	;; [unrolled: 7-line block ×3, first 2 shown]
	s_waitcnt lgkmcnt(0)
	v_add_f64 v[1:2], v[1:2], v[3:4]
	v_cndmask_b32_e64 v3, 0, 16, vcc
	v_add_lshl_u32 v4, v3, v5, 2
	ds_bpermute_b32 v3, v4, v1
	ds_bpermute_b32 v4, v4, v2
	s_waitcnt lgkmcnt(0)
	v_add_f64 v[1:2], v[1:2], v[3:4]
	v_mov_b32_e32 v3, 0x80
	v_lshl_or_b32 v4, v5, 2, v3
	ds_bpermute_b32 v3, v4, v1
	ds_bpermute_b32 v4, v4, v2
	s_waitcnt lgkmcnt(0)
	v_add_f64 v[1:2], v[1:2], v[3:4]
	v_and_b32_e32 v3, 63, v0
	v_cmp_eq_u32_e32 vcc, 0, v3
	s_and_saveexec_b64 s[2:3], vcc
; %bb.7:
	v_lshrrev_b32_e32 v3, 3, v0
	v_add_u32_e32 v3, 0, v3
	ds_write_b64 v3, v[1:2]
; %bb.8:
	s_or_b64 exec, exec, s[2:3]
	v_cmp_eq_u32_e32 vcc, 0, v0
	s_waitcnt lgkmcnt(0)
	s_barrier
	s_and_saveexec_b64 s[2:3], vcc
	s_cbranch_execz .LBB20_10
; %bb.9:
	v_mov_b32_e32 v11, 0
	ds_read2_b64 v[3:6], v11 offset0:1 offset1:2
	ds_read2_b64 v[7:10], v11 offset0:3 offset1:4
	s_waitcnt lgkmcnt(1)
	v_add_f64 v[1:2], v[1:2], v[3:4]
	v_add_f64 v[1:2], v[1:2], v[5:6]
	s_waitcnt lgkmcnt(0)
	v_add_f64 v[1:2], v[1:2], v[7:8]
	v_add_f64 v[9:10], v[1:2], v[9:10]
	ds_read2_b64 v[1:4], v11 offset0:5 offset1:6
	ds_read2_b64 v[5:8], v11 offset0:7 offset1:8
	s_waitcnt lgkmcnt(1)
	v_add_f64 v[1:2], v[9:10], v[1:2]
	v_add_f64 v[1:2], v[1:2], v[3:4]
	s_waitcnt lgkmcnt(0)
	v_add_f64 v[1:2], v[1:2], v[5:6]
	v_add_f64 v[9:10], v[1:2], v[7:8]
	;; [unrolled: 8-line block ×3, first 2 shown]
	ds_read2_b64 v[1:4], v11 offset0:13 offset1:14
	ds_read_b64 v[7:8], v11 offset:120
	s_waitcnt lgkmcnt(1)
	v_add_f64 v[1:2], v[5:6], v[1:2]
	v_add_f64 v[1:2], v[1:2], v[3:4]
	s_waitcnt lgkmcnt(0)
	v_add_f64 v[1:2], v[1:2], v[7:8]
	ds_write_b64 v11, v[1:2]
.LBB20_10:
	s_or_b64 exec, exec, s[2:3]
	s_waitcnt lgkmcnt(0)
	s_barrier
	s_and_saveexec_b64 s[2:3], s[0:1]
	s_cbranch_execz .LBB20_13
; %bb.11:
	s_mul_i32 s0, s14, s9
	s_mul_hi_u32 s1, s14, s8
	s_add_i32 s0, s1, s0
	s_mul_i32 s1, s15, s8
	s_add_i32 s1, s0, s1
	s_mul_i32 s0, s14, s8
	s_lshl_b64 s[0:1], s[0:1], 3
	s_add_u32 s0, s12, s0
	s_addc_u32 s1, s13, s1
	v_mov_b32_e32 v1, 0
	s_load_dwordx2 s[0:1], s[0:1], 0x0
	ds_read_b64 v[1:2], v1
	s_lshl_b64 s[2:3], s[18:19], 3
	v_lshlrev_b32_e32 v3, 3, v0
	v_add_u32_e32 v4, 0, v3
	v_add_u32_e32 v5, 0x80, v4
	s_waitcnt lgkmcnt(0)
	v_mul_f64 v[1:2], v[1:2], -s[0:1]
	s_lshl_b64 s[0:1], s[16:17], 3
	s_add_u32 s0, s0, s2
	s_addc_u32 s1, s1, s3
	s_add_u32 s0, s10, s0
	s_addc_u32 s1, s11, s1
	v_mov_b32_e32 v4, s1
	v_add_co_u32_e32 v3, vcc, s0, v3
	v_addc_co_u32_e32 v4, vcc, 0, v4, vcc
	s_mov_b64 s[0:1], 0
.LBB20_12:                              ; =>This Inner Loop Header: Depth=1
	flat_load_dwordx2 v[6:7], v[3:4]
	ds_read_b64 v[8:9], v5
	v_add_u32_e32 v0, 0x400, v0
	v_cmp_le_i32_e32 vcc, s20, v0
	s_or_b64 s[0:1], vcc, s[0:1]
	v_add_u32_e32 v5, 0x2000, v5
	s_waitcnt vmcnt(0) lgkmcnt(0)
	v_fma_f64 v[6:7], v[1:2], v[8:9], v[6:7]
	flat_store_dwordx2 v[3:4], v[6:7]
	v_add_co_u32_e32 v3, vcc, 0x2000, v3
	v_addc_co_u32_e32 v4, vcc, 0, v4, vcc
	s_andn2_b64 exec, exec, s[0:1]
	s_cbranch_execnz .LBB20_12
.LBB20_13:
	s_endpgm
	.section	.rodata,"a",@progbits
	.p2align	6, 0x0
	.amdhsa_kernel _ZN9rocsolver6v33100L16larf_left_kernelILi1024EdiPKPdEEvT1_S5_T2_lS5_lPKT0_lS6_lS5_l
		.amdhsa_group_segment_fixed_size 0
		.amdhsa_private_segment_fixed_size 0
		.amdhsa_kernarg_size 88
		.amdhsa_user_sgpr_count 6
		.amdhsa_user_sgpr_private_segment_buffer 1
		.amdhsa_user_sgpr_dispatch_ptr 0
		.amdhsa_user_sgpr_queue_ptr 0
		.amdhsa_user_sgpr_kernarg_segment_ptr 1
		.amdhsa_user_sgpr_dispatch_id 0
		.amdhsa_user_sgpr_flat_scratch_init 0
		.amdhsa_user_sgpr_private_segment_size 0
		.amdhsa_uses_dynamic_stack 0
		.amdhsa_system_sgpr_private_segment_wavefront_offset 0
		.amdhsa_system_sgpr_workgroup_id_x 1
		.amdhsa_system_sgpr_workgroup_id_y 1
		.amdhsa_system_sgpr_workgroup_id_z 1
		.amdhsa_system_sgpr_workgroup_info 0
		.amdhsa_system_vgpr_workitem_id 0
		.amdhsa_next_free_vgpr 12
		.amdhsa_next_free_sgpr 30
		.amdhsa_reserve_vcc 1
		.amdhsa_reserve_flat_scratch 0
		.amdhsa_float_round_mode_32 0
		.amdhsa_float_round_mode_16_64 0
		.amdhsa_float_denorm_mode_32 3
		.amdhsa_float_denorm_mode_16_64 3
		.amdhsa_dx10_clamp 1
		.amdhsa_ieee_mode 1
		.amdhsa_fp16_overflow 0
		.amdhsa_exception_fp_ieee_invalid_op 0
		.amdhsa_exception_fp_denorm_src 0
		.amdhsa_exception_fp_ieee_div_zero 0
		.amdhsa_exception_fp_ieee_overflow 0
		.amdhsa_exception_fp_ieee_underflow 0
		.amdhsa_exception_fp_ieee_inexact 0
		.amdhsa_exception_int_div_zero 0
	.end_amdhsa_kernel
	.section	.text._ZN9rocsolver6v33100L16larf_left_kernelILi1024EdiPKPdEEvT1_S5_T2_lS5_lPKT0_lS6_lS5_l,"axG",@progbits,_ZN9rocsolver6v33100L16larf_left_kernelILi1024EdiPKPdEEvT1_S5_T2_lS5_lPKT0_lS6_lS5_l,comdat
.Lfunc_end20:
	.size	_ZN9rocsolver6v33100L16larf_left_kernelILi1024EdiPKPdEEvT1_S5_T2_lS5_lPKT0_lS6_lS5_l, .Lfunc_end20-_ZN9rocsolver6v33100L16larf_left_kernelILi1024EdiPKPdEEvT1_S5_T2_lS5_lPKT0_lS6_lS5_l
                                        ; -- End function
	.set _ZN9rocsolver6v33100L16larf_left_kernelILi1024EdiPKPdEEvT1_S5_T2_lS5_lPKT0_lS6_lS5_l.num_vgpr, 12
	.set _ZN9rocsolver6v33100L16larf_left_kernelILi1024EdiPKPdEEvT1_S5_T2_lS5_lPKT0_lS6_lS5_l.num_agpr, 0
	.set _ZN9rocsolver6v33100L16larf_left_kernelILi1024EdiPKPdEEvT1_S5_T2_lS5_lPKT0_lS6_lS5_l.numbered_sgpr, 30
	.set _ZN9rocsolver6v33100L16larf_left_kernelILi1024EdiPKPdEEvT1_S5_T2_lS5_lPKT0_lS6_lS5_l.num_named_barrier, 0
	.set _ZN9rocsolver6v33100L16larf_left_kernelILi1024EdiPKPdEEvT1_S5_T2_lS5_lPKT0_lS6_lS5_l.private_seg_size, 0
	.set _ZN9rocsolver6v33100L16larf_left_kernelILi1024EdiPKPdEEvT1_S5_T2_lS5_lPKT0_lS6_lS5_l.uses_vcc, 1
	.set _ZN9rocsolver6v33100L16larf_left_kernelILi1024EdiPKPdEEvT1_S5_T2_lS5_lPKT0_lS6_lS5_l.uses_flat_scratch, 0
	.set _ZN9rocsolver6v33100L16larf_left_kernelILi1024EdiPKPdEEvT1_S5_T2_lS5_lPKT0_lS6_lS5_l.has_dyn_sized_stack, 0
	.set _ZN9rocsolver6v33100L16larf_left_kernelILi1024EdiPKPdEEvT1_S5_T2_lS5_lPKT0_lS6_lS5_l.has_recursion, 0
	.set _ZN9rocsolver6v33100L16larf_left_kernelILi1024EdiPKPdEEvT1_S5_T2_lS5_lPKT0_lS6_lS5_l.has_indirect_call, 0
	.section	.AMDGPU.csdata,"",@progbits
; Kernel info:
; codeLenInByte = 1252
; TotalNumSgprs: 34
; NumVgprs: 12
; ScratchSize: 0
; MemoryBound: 0
; FloatMode: 240
; IeeeMode: 1
; LDSByteSize: 0 bytes/workgroup (compile time only)
; SGPRBlocks: 4
; VGPRBlocks: 2
; NumSGPRsForWavesPerEU: 34
; NumVGPRsForWavesPerEU: 12
; Occupancy: 10
; WaveLimiterHint : 0
; COMPUTE_PGM_RSRC2:SCRATCH_EN: 0
; COMPUTE_PGM_RSRC2:USER_SGPR: 6
; COMPUTE_PGM_RSRC2:TRAP_HANDLER: 0
; COMPUTE_PGM_RSRC2:TGID_X_EN: 1
; COMPUTE_PGM_RSRC2:TGID_Y_EN: 1
; COMPUTE_PGM_RSRC2:TGID_Z_EN: 1
; COMPUTE_PGM_RSRC2:TIDIG_COMP_CNT: 0
	.section	.text._ZN9rocsolver6v33100L17larf_right_kernelILi1024EdiPKPdEEvT1_S5_T2_lS5_lPKT0_lS6_lS5_l,"axG",@progbits,_ZN9rocsolver6v33100L17larf_right_kernelILi1024EdiPKPdEEvT1_S5_T2_lS5_lPKT0_lS6_lS5_l,comdat
	.globl	_ZN9rocsolver6v33100L17larf_right_kernelILi1024EdiPKPdEEvT1_S5_T2_lS5_lPKT0_lS6_lS5_l ; -- Begin function _ZN9rocsolver6v33100L17larf_right_kernelILi1024EdiPKPdEEvT1_S5_T2_lS5_lPKT0_lS6_lS5_l
	.p2align	8
	.type	_ZN9rocsolver6v33100L17larf_right_kernelILi1024EdiPKPdEEvT1_S5_T2_lS5_lPKT0_lS6_lS5_l,@function
_ZN9rocsolver6v33100L17larf_right_kernelILi1024EdiPKPdEEvT1_S5_T2_lS5_lPKT0_lS6_lS5_l: ; @_ZN9rocsolver6v33100L17larf_right_kernelILi1024EdiPKPdEEvT1_S5_T2_lS5_lPKT0_lS6_lS5_l
; %bb.0:
	s_load_dwordx8 s[12:19], s[4:5], 0x28
	s_load_dword s24, s[4:5], 0x4
	s_load_dword s6, s[4:5], 0x48
	s_ashr_i32 s9, s8, 31
	s_lshl_b64 s[0:1], s[8:9], 3
	s_waitcnt lgkmcnt(0)
	s_add_u32 s2, s16, s0
	s_addc_u32 s3, s17, s1
	s_load_dwordx2 s[16:17], s[2:3], 0x0
	v_mov_b32_e32 v1, 0
	s_mov_b32 s10, s7
	s_ashr_i32 s11, s7, 31
	v_cmp_gt_i32_e32 vcc, s24, v0
	v_mov_b32_e32 v2, 0
	v_lshl_add_u32 v5, v0, 3, 0
	s_and_saveexec_b64 s[20:21], vcc
	s_cbranch_execz .LBB21_6
; %bb.1:
	s_load_dword s2, s[4:5], 0x18
	s_load_dwordx4 s[28:31], s[4:5], 0x8
	s_sub_i32 s4, 1, s24
	v_add_u32_e32 v6, 0x80, v5
	v_mov_b32_e32 v4, v6
	s_waitcnt lgkmcnt(0)
	s_ashr_i32 s3, s2, 31
	s_mul_i32 s7, s2, s4
	v_cmp_lt_i64_e64 s[4:5], s[2:3], 1
	v_mad_i64_i32 v[1:2], s[22:23], s2, v0, 0
	s_and_b64 s[4:5], s[4:5], exec
	s_cselect_b32 s4, s7, 0
	s_ashr_i32 s5, s4, 31
	s_add_u32 s0, s28, s0
	s_addc_u32 s1, s29, s1
	s_load_dwordx2 s[0:1], s[0:1], 0x0
	s_lshl_b64 s[22:23], s[30:31], 3
	s_lshl_b64 s[4:5], s[4:5], 3
	v_lshlrev_b64 v[1:2], 3, v[1:2]
	v_mov_b32_e32 v7, v0
	s_waitcnt lgkmcnt(0)
	s_add_u32 s0, s0, s4
	s_addc_u32 s1, s1, s5
	s_add_u32 s0, s0, s22
	s_addc_u32 s1, s1, s23
	v_mov_b32_e32 v3, s1
	v_add_co_u32_e64 v1, s[0:1], s0, v1
	s_lshl_b64 s[4:5], s[2:3], 13
	v_addc_co_u32_e64 v2, s[0:1], v3, v2, s[0:1]
	s_mov_b64 s[2:3], 0
	v_mov_b32_e32 v3, s5
.LBB21_2:                               ; =>This Inner Loop Header: Depth=1
	flat_load_dwordx2 v[8:9], v[1:2]
	v_add_co_u32_e64 v1, s[0:1], s4, v1
	v_add_u32_e32 v7, 0x400, v7
	v_addc_co_u32_e64 v2, s[0:1], v2, v3, s[0:1]
	v_cmp_le_i32_e64 s[0:1], s24, v7
	s_or_b64 s[2:3], s[0:1], s[2:3]
	s_waitcnt vmcnt(0) lgkmcnt(0)
	ds_write_b64 v4, v[8:9]
	v_add_u32_e32 v4, 0x2000, v4
	s_andn2_b64 exec, exec, s[2:3]
	s_cbranch_execnz .LBB21_2
; %bb.3:
	s_or_b64 exec, exec, s[2:3]
	v_mad_i64_i32 v[1:2], s[0:1], s6, v0, 0
	s_ashr_i32 s7, s6, 31
	s_lshl_b64 s[0:1], s[18:19], 3
	s_lshl_b64 s[2:3], s[10:11], 3
	s_add_u32 s2, s16, s2
	s_addc_u32 s3, s17, s3
	v_lshlrev_b64 v[1:2], 3, v[1:2]
	s_add_u32 s0, s2, s0
	s_addc_u32 s1, s3, s1
	v_mov_b32_e32 v4, s1
	v_add_co_u32_e64 v3, s[0:1], s0, v1
	v_addc_co_u32_e64 v4, s[0:1], v4, v2, s[0:1]
	s_lshl_b64 s[4:5], s[6:7], 13
	v_mov_b32_e32 v1, 0
	v_mov_b32_e32 v2, 0
	s_mov_b64 s[22:23], 0
	v_mov_b32_e32 v7, s5
	v_mov_b32_e32 v8, v0
.LBB21_4:                               ; =>This Inner Loop Header: Depth=1
	flat_load_dwordx2 v[9:10], v[3:4]
	ds_read_b64 v[11:12], v6
	v_add_u32_e32 v8, 0x400, v8
	v_add_co_u32_e64 v3, s[0:1], s4, v3
	v_cmp_le_i32_e64 s[2:3], s24, v8
	v_add_u32_e32 v6, 0x2000, v6
	s_or_b64 s[22:23], s[2:3], s[22:23]
	v_addc_co_u32_e64 v4, s[0:1], v4, v7, s[0:1]
	s_waitcnt vmcnt(0) lgkmcnt(0)
	v_fma_f64 v[1:2], v[9:10], v[11:12], v[1:2]
	s_andn2_b64 exec, exec, s[22:23]
	s_cbranch_execnz .LBB21_4
; %bb.5:
	s_or_b64 exec, exec, s[22:23]
.LBB21_6:
	s_or_b64 exec, exec, s[20:21]
	v_mbcnt_lo_u32_b32 v3, -1, 0
	v_mbcnt_hi_u32_b32 v6, -1, v3
	v_and_b32_e32 v7, 63, v6
	v_cmp_ne_u32_e64 s[0:1], 63, v7
	v_addc_co_u32_e64 v3, s[0:1], 0, v6, s[0:1]
	v_lshlrev_b32_e32 v4, 2, v3
	ds_bpermute_b32 v3, v4, v1
	ds_bpermute_b32 v4, v4, v2
	v_cmp_gt_u32_e64 s[0:1], 62, v7
	s_waitcnt lgkmcnt(0)
	v_add_f64 v[1:2], v[1:2], v[3:4]
	v_cndmask_b32_e64 v3, 0, 2, s[0:1]
	v_add_lshl_u32 v4, v3, v6, 2
	v_cmp_gt_u32_e64 s[0:1], 60, v7
	ds_bpermute_b32 v3, v4, v1
	ds_bpermute_b32 v4, v4, v2
	s_waitcnt lgkmcnt(0)
	v_add_f64 v[1:2], v[1:2], v[3:4]
	v_cndmask_b32_e64 v3, 0, 4, s[0:1]
	v_add_lshl_u32 v4, v3, v6, 2
	v_cmp_gt_u32_e64 s[0:1], 56, v7
	ds_bpermute_b32 v3, v4, v1
	ds_bpermute_b32 v4, v4, v2
	;; [unrolled: 7-line block ×3, first 2 shown]
	s_waitcnt lgkmcnt(0)
	v_add_f64 v[1:2], v[1:2], v[3:4]
	v_cndmask_b32_e64 v3, 0, 16, s[0:1]
	v_add_lshl_u32 v4, v3, v6, 2
	ds_bpermute_b32 v3, v4, v1
	ds_bpermute_b32 v4, v4, v2
	s_waitcnt lgkmcnt(0)
	v_add_f64 v[1:2], v[1:2], v[3:4]
	v_mov_b32_e32 v3, 0x80
	v_lshl_or_b32 v4, v6, 2, v3
	ds_bpermute_b32 v3, v4, v1
	ds_bpermute_b32 v4, v4, v2
	s_waitcnt lgkmcnt(0)
	v_add_f64 v[1:2], v[1:2], v[3:4]
	v_and_b32_e32 v3, 63, v0
	v_cmp_eq_u32_e64 s[0:1], 0, v3
	s_and_saveexec_b64 s[2:3], s[0:1]
; %bb.7:
	v_lshrrev_b32_e32 v3, 3, v0
	v_add_u32_e32 v3, 0, v3
	ds_write_b64 v3, v[1:2]
; %bb.8:
	s_or_b64 exec, exec, s[2:3]
	v_cmp_eq_u32_e64 s[0:1], 0, v0
	s_waitcnt lgkmcnt(0)
	s_barrier
	s_and_saveexec_b64 s[2:3], s[0:1]
	s_cbranch_execz .LBB21_10
; %bb.9:
	v_mov_b32_e32 v14, 0
	ds_read2_b64 v[6:9], v14 offset0:1 offset1:2
	ds_read2_b64 v[10:13], v14 offset0:3 offset1:4
	s_waitcnt lgkmcnt(1)
	v_add_f64 v[1:2], v[1:2], v[6:7]
	v_add_f64 v[1:2], v[1:2], v[8:9]
	s_waitcnt lgkmcnt(0)
	v_add_f64 v[1:2], v[1:2], v[10:11]
	v_add_f64 v[10:11], v[1:2], v[12:13]
	ds_read2_b64 v[1:4], v14 offset0:5 offset1:6
	ds_read2_b64 v[6:9], v14 offset0:7 offset1:8
	s_waitcnt lgkmcnt(1)
	v_add_f64 v[1:2], v[10:11], v[1:2]
	v_add_f64 v[1:2], v[1:2], v[3:4]
	s_waitcnt lgkmcnt(0)
	v_add_f64 v[1:2], v[1:2], v[6:7]
	v_add_f64 v[10:11], v[1:2], v[8:9]
	;; [unrolled: 8-line block ×3, first 2 shown]
	ds_read2_b64 v[1:4], v14 offset0:13 offset1:14
	ds_read_b64 v[8:9], v14 offset:120
	s_waitcnt lgkmcnt(1)
	v_add_f64 v[1:2], v[6:7], v[1:2]
	v_add_f64 v[1:2], v[1:2], v[3:4]
	s_waitcnt lgkmcnt(0)
	v_add_f64 v[1:2], v[1:2], v[8:9]
	ds_write_b64 v14, v[1:2]
.LBB21_10:
	s_or_b64 exec, exec, s[2:3]
	s_waitcnt lgkmcnt(0)
	s_barrier
	s_and_saveexec_b64 s[0:1], vcc
	s_cbranch_execz .LBB21_13
; %bb.11:
	s_mul_i32 s0, s14, s9
	s_mul_hi_u32 s1, s14, s8
	s_add_i32 s0, s1, s0
	s_mul_i32 s1, s15, s8
	s_add_i32 s1, s0, s1
	s_mul_i32 s0, s14, s8
	s_lshl_b64 s[0:1], s[0:1], 3
	s_add_u32 s0, s12, s0
	s_addc_u32 s1, s13, s1
	v_mov_b32_e32 v1, 0
	s_load_dwordx2 s[0:1], s[0:1], 0x0
	ds_read_b64 v[1:2], v1
	v_mad_i64_i32 v[3:4], s[2:3], s6, v0, 0
	s_ashr_i32 s7, s6, 31
	s_lshl_b64 s[2:3], s[10:11], 3
	s_waitcnt lgkmcnt(0)
	v_mul_f64 v[1:2], v[1:2], -s[0:1]
	s_lshl_b64 s[0:1], s[18:19], 3
	s_add_u32 s2, s16, s2
	s_addc_u32 s3, s17, s3
	v_lshlrev_b64 v[3:4], 3, v[3:4]
	s_add_u32 s0, s2, s0
	s_addc_u32 s1, s3, s1
	v_mov_b32_e32 v6, s1
	v_add_co_u32_e32 v3, vcc, s0, v3
	s_lshl_b64 s[0:1], s[6:7], 13
	v_add_u32_e32 v5, 0x80, v5
	v_addc_co_u32_e32 v4, vcc, v6, v4, vcc
	s_mov_b64 s[2:3], 0
	v_mov_b32_e32 v6, s1
.LBB21_12:                              ; =>This Inner Loop Header: Depth=1
	flat_load_dwordx2 v[7:8], v[3:4]
	ds_read_b64 v[9:10], v5
	v_add_u32_e32 v0, 0x400, v0
	v_cmp_le_i32_e32 vcc, s24, v0
	s_or_b64 s[2:3], vcc, s[2:3]
	v_add_u32_e32 v5, 0x2000, v5
	s_waitcnt vmcnt(0) lgkmcnt(0)
	v_fma_f64 v[7:8], v[1:2], v[9:10], v[7:8]
	flat_store_dwordx2 v[3:4], v[7:8]
	v_add_co_u32_e32 v3, vcc, s0, v3
	v_addc_co_u32_e32 v4, vcc, v4, v6, vcc
	s_andn2_b64 exec, exec, s[2:3]
	s_cbranch_execnz .LBB21_12
.LBB21_13:
	s_endpgm
	.section	.rodata,"a",@progbits
	.p2align	6, 0x0
	.amdhsa_kernel _ZN9rocsolver6v33100L17larf_right_kernelILi1024EdiPKPdEEvT1_S5_T2_lS5_lPKT0_lS6_lS5_l
		.amdhsa_group_segment_fixed_size 0
		.amdhsa_private_segment_fixed_size 0
		.amdhsa_kernarg_size 88
		.amdhsa_user_sgpr_count 6
		.amdhsa_user_sgpr_private_segment_buffer 1
		.amdhsa_user_sgpr_dispatch_ptr 0
		.amdhsa_user_sgpr_queue_ptr 0
		.amdhsa_user_sgpr_kernarg_segment_ptr 1
		.amdhsa_user_sgpr_dispatch_id 0
		.amdhsa_user_sgpr_flat_scratch_init 0
		.amdhsa_user_sgpr_private_segment_size 0
		.amdhsa_uses_dynamic_stack 0
		.amdhsa_system_sgpr_private_segment_wavefront_offset 0
		.amdhsa_system_sgpr_workgroup_id_x 1
		.amdhsa_system_sgpr_workgroup_id_y 1
		.amdhsa_system_sgpr_workgroup_id_z 1
		.amdhsa_system_sgpr_workgroup_info 0
		.amdhsa_system_vgpr_workitem_id 0
		.amdhsa_next_free_vgpr 15
		.amdhsa_next_free_sgpr 32
		.amdhsa_reserve_vcc 1
		.amdhsa_reserve_flat_scratch 0
		.amdhsa_float_round_mode_32 0
		.amdhsa_float_round_mode_16_64 0
		.amdhsa_float_denorm_mode_32 3
		.amdhsa_float_denorm_mode_16_64 3
		.amdhsa_dx10_clamp 1
		.amdhsa_ieee_mode 1
		.amdhsa_fp16_overflow 0
		.amdhsa_exception_fp_ieee_invalid_op 0
		.amdhsa_exception_fp_denorm_src 0
		.amdhsa_exception_fp_ieee_div_zero 0
		.amdhsa_exception_fp_ieee_overflow 0
		.amdhsa_exception_fp_ieee_underflow 0
		.amdhsa_exception_fp_ieee_inexact 0
		.amdhsa_exception_int_div_zero 0
	.end_amdhsa_kernel
	.section	.text._ZN9rocsolver6v33100L17larf_right_kernelILi1024EdiPKPdEEvT1_S5_T2_lS5_lPKT0_lS6_lS5_l,"axG",@progbits,_ZN9rocsolver6v33100L17larf_right_kernelILi1024EdiPKPdEEvT1_S5_T2_lS5_lPKT0_lS6_lS5_l,comdat
.Lfunc_end21:
	.size	_ZN9rocsolver6v33100L17larf_right_kernelILi1024EdiPKPdEEvT1_S5_T2_lS5_lPKT0_lS6_lS5_l, .Lfunc_end21-_ZN9rocsolver6v33100L17larf_right_kernelILi1024EdiPKPdEEvT1_S5_T2_lS5_lPKT0_lS6_lS5_l
                                        ; -- End function
	.set _ZN9rocsolver6v33100L17larf_right_kernelILi1024EdiPKPdEEvT1_S5_T2_lS5_lPKT0_lS6_lS5_l.num_vgpr, 15
	.set _ZN9rocsolver6v33100L17larf_right_kernelILi1024EdiPKPdEEvT1_S5_T2_lS5_lPKT0_lS6_lS5_l.num_agpr, 0
	.set _ZN9rocsolver6v33100L17larf_right_kernelILi1024EdiPKPdEEvT1_S5_T2_lS5_lPKT0_lS6_lS5_l.numbered_sgpr, 32
	.set _ZN9rocsolver6v33100L17larf_right_kernelILi1024EdiPKPdEEvT1_S5_T2_lS5_lPKT0_lS6_lS5_l.num_named_barrier, 0
	.set _ZN9rocsolver6v33100L17larf_right_kernelILi1024EdiPKPdEEvT1_S5_T2_lS5_lPKT0_lS6_lS5_l.private_seg_size, 0
	.set _ZN9rocsolver6v33100L17larf_right_kernelILi1024EdiPKPdEEvT1_S5_T2_lS5_lPKT0_lS6_lS5_l.uses_vcc, 1
	.set _ZN9rocsolver6v33100L17larf_right_kernelILi1024EdiPKPdEEvT1_S5_T2_lS5_lPKT0_lS6_lS5_l.uses_flat_scratch, 0
	.set _ZN9rocsolver6v33100L17larf_right_kernelILi1024EdiPKPdEEvT1_S5_T2_lS5_lPKT0_lS6_lS5_l.has_dyn_sized_stack, 0
	.set _ZN9rocsolver6v33100L17larf_right_kernelILi1024EdiPKPdEEvT1_S5_T2_lS5_lPKT0_lS6_lS5_l.has_recursion, 0
	.set _ZN9rocsolver6v33100L17larf_right_kernelILi1024EdiPKPdEEvT1_S5_T2_lS5_lPKT0_lS6_lS5_l.has_indirect_call, 0
	.section	.AMDGPU.csdata,"",@progbits
; Kernel info:
; codeLenInByte = 1352
; TotalNumSgprs: 36
; NumVgprs: 15
; ScratchSize: 0
; MemoryBound: 0
; FloatMode: 240
; IeeeMode: 1
; LDSByteSize: 0 bytes/workgroup (compile time only)
; SGPRBlocks: 4
; VGPRBlocks: 3
; NumSGPRsForWavesPerEU: 36
; NumVGPRsForWavesPerEU: 15
; Occupancy: 10
; WaveLimiterHint : 0
; COMPUTE_PGM_RSRC2:SCRATCH_EN: 0
; COMPUTE_PGM_RSRC2:USER_SGPR: 6
; COMPUTE_PGM_RSRC2:TRAP_HANDLER: 0
; COMPUTE_PGM_RSRC2:TGID_X_EN: 1
; COMPUTE_PGM_RSRC2:TGID_Y_EN: 1
; COMPUTE_PGM_RSRC2:TGID_Z_EN: 1
; COMPUTE_PGM_RSRC2:TIDIG_COMP_CNT: 0
	.section	.text._ZN9rocsolver6v33100L9get_arrayIdiEEvPPT_S3_lT0_,"axG",@progbits,_ZN9rocsolver6v33100L9get_arrayIdiEEvPPT_S3_lT0_,comdat
	.globl	_ZN9rocsolver6v33100L9get_arrayIdiEEvPPT_S3_lT0_ ; -- Begin function _ZN9rocsolver6v33100L9get_arrayIdiEEvPPT_S3_lT0_
	.p2align	8
	.type	_ZN9rocsolver6v33100L9get_arrayIdiEEvPPT_S3_lT0_,@function
_ZN9rocsolver6v33100L9get_arrayIdiEEvPPT_S3_lT0_: ; @_ZN9rocsolver6v33100L9get_arrayIdiEEvPPT_S3_lT0_
; %bb.0:
	s_load_dword s0, s[4:5], 0x2c
	s_load_dword s1, s[4:5], 0x18
	s_waitcnt lgkmcnt(0)
	s_and_b32 s0, s0, 0xffff
	s_mul_i32 s6, s6, s0
	v_add_u32_e32 v0, s6, v0
	v_cmp_gt_i32_e32 vcc, s1, v0
	s_and_saveexec_b64 s[0:1], vcc
	s_cbranch_execz .LBB22_2
; %bb.1:
	s_load_dwordx2 s[6:7], s[4:5], 0x10
	s_load_dwordx4 s[0:3], s[4:5], 0x0
	v_ashrrev_i32_e32 v1, 31, v0
	s_waitcnt lgkmcnt(0)
	v_mul_lo_u32 v4, s7, v0
	v_mul_lo_u32 v5, s6, v1
	v_mad_u64_u32 v[2:3], s[4:5], s6, v0, 0
	v_mov_b32_e32 v6, s3
	v_lshlrev_b64 v[0:1], 3, v[0:1]
	v_add3_u32 v3, v3, v5, v4
	v_lshlrev_b64 v[2:3], 3, v[2:3]
	v_mov_b32_e32 v4, s1
	v_add_co_u32_e32 v2, vcc, s2, v2
	v_addc_co_u32_e32 v3, vcc, v6, v3, vcc
	v_add_co_u32_e32 v0, vcc, s0, v0
	v_addc_co_u32_e32 v1, vcc, v4, v1, vcc
	global_store_dwordx2 v[0:1], v[2:3], off
.LBB22_2:
	s_endpgm
	.section	.rodata,"a",@progbits
	.p2align	6, 0x0
	.amdhsa_kernel _ZN9rocsolver6v33100L9get_arrayIdiEEvPPT_S3_lT0_
		.amdhsa_group_segment_fixed_size 0
		.amdhsa_private_segment_fixed_size 0
		.amdhsa_kernarg_size 288
		.amdhsa_user_sgpr_count 6
		.amdhsa_user_sgpr_private_segment_buffer 1
		.amdhsa_user_sgpr_dispatch_ptr 0
		.amdhsa_user_sgpr_queue_ptr 0
		.amdhsa_user_sgpr_kernarg_segment_ptr 1
		.amdhsa_user_sgpr_dispatch_id 0
		.amdhsa_user_sgpr_flat_scratch_init 0
		.amdhsa_user_sgpr_private_segment_size 0
		.amdhsa_uses_dynamic_stack 0
		.amdhsa_system_sgpr_private_segment_wavefront_offset 0
		.amdhsa_system_sgpr_workgroup_id_x 1
		.amdhsa_system_sgpr_workgroup_id_y 0
		.amdhsa_system_sgpr_workgroup_id_z 0
		.amdhsa_system_sgpr_workgroup_info 0
		.amdhsa_system_vgpr_workitem_id 0
		.amdhsa_next_free_vgpr 7
		.amdhsa_next_free_sgpr 8
		.amdhsa_reserve_vcc 1
		.amdhsa_reserve_flat_scratch 0
		.amdhsa_float_round_mode_32 0
		.amdhsa_float_round_mode_16_64 0
		.amdhsa_float_denorm_mode_32 3
		.amdhsa_float_denorm_mode_16_64 3
		.amdhsa_dx10_clamp 1
		.amdhsa_ieee_mode 1
		.amdhsa_fp16_overflow 0
		.amdhsa_exception_fp_ieee_invalid_op 0
		.amdhsa_exception_fp_denorm_src 0
		.amdhsa_exception_fp_ieee_div_zero 0
		.amdhsa_exception_fp_ieee_overflow 0
		.amdhsa_exception_fp_ieee_underflow 0
		.amdhsa_exception_fp_ieee_inexact 0
		.amdhsa_exception_int_div_zero 0
	.end_amdhsa_kernel
	.section	.text._ZN9rocsolver6v33100L9get_arrayIdiEEvPPT_S3_lT0_,"axG",@progbits,_ZN9rocsolver6v33100L9get_arrayIdiEEvPPT_S3_lT0_,comdat
.Lfunc_end22:
	.size	_ZN9rocsolver6v33100L9get_arrayIdiEEvPPT_S3_lT0_, .Lfunc_end22-_ZN9rocsolver6v33100L9get_arrayIdiEEvPPT_S3_lT0_
                                        ; -- End function
	.set _ZN9rocsolver6v33100L9get_arrayIdiEEvPPT_S3_lT0_.num_vgpr, 7
	.set _ZN9rocsolver6v33100L9get_arrayIdiEEvPPT_S3_lT0_.num_agpr, 0
	.set _ZN9rocsolver6v33100L9get_arrayIdiEEvPPT_S3_lT0_.numbered_sgpr, 8
	.set _ZN9rocsolver6v33100L9get_arrayIdiEEvPPT_S3_lT0_.num_named_barrier, 0
	.set _ZN9rocsolver6v33100L9get_arrayIdiEEvPPT_S3_lT0_.private_seg_size, 0
	.set _ZN9rocsolver6v33100L9get_arrayIdiEEvPPT_S3_lT0_.uses_vcc, 1
	.set _ZN9rocsolver6v33100L9get_arrayIdiEEvPPT_S3_lT0_.uses_flat_scratch, 0
	.set _ZN9rocsolver6v33100L9get_arrayIdiEEvPPT_S3_lT0_.has_dyn_sized_stack, 0
	.set _ZN9rocsolver6v33100L9get_arrayIdiEEvPPT_S3_lT0_.has_recursion, 0
	.set _ZN9rocsolver6v33100L9get_arrayIdiEEvPPT_S3_lT0_.has_indirect_call, 0
	.section	.AMDGPU.csdata,"",@progbits
; Kernel info:
; codeLenInByte = 156
; TotalNumSgprs: 12
; NumVgprs: 7
; ScratchSize: 0
; MemoryBound: 0
; FloatMode: 240
; IeeeMode: 1
; LDSByteSize: 0 bytes/workgroup (compile time only)
; SGPRBlocks: 1
; VGPRBlocks: 1
; NumSGPRsForWavesPerEU: 12
; NumVGPRsForWavesPerEU: 7
; Occupancy: 10
; WaveLimiterHint : 0
; COMPUTE_PGM_RSRC2:SCRATCH_EN: 0
; COMPUTE_PGM_RSRC2:USER_SGPR: 6
; COMPUTE_PGM_RSRC2:TRAP_HANDLER: 0
; COMPUTE_PGM_RSRC2:TGID_X_EN: 1
; COMPUTE_PGM_RSRC2:TGID_Y_EN: 0
; COMPUTE_PGM_RSRC2:TGID_Z_EN: 0
; COMPUTE_PGM_RSRC2:TIDIG_COMP_CNT: 0
	.section	.text._ZN9rocsolver6v33100L12restore_diagIdidPKPdEEvPT1_llT2_lT0_lS8_,"axG",@progbits,_ZN9rocsolver6v33100L12restore_diagIdidPKPdEEvPT1_llT2_lT0_lS8_,comdat
	.globl	_ZN9rocsolver6v33100L12restore_diagIdidPKPdEEvPT1_llT2_lT0_lS8_ ; -- Begin function _ZN9rocsolver6v33100L12restore_diagIdidPKPdEEvPT1_llT2_lT0_lS8_
	.p2align	8
	.type	_ZN9rocsolver6v33100L12restore_diagIdidPKPdEEvPT1_llT2_lT0_lS8_,@function
_ZN9rocsolver6v33100L12restore_diagIdidPKPdEEvPT1_llT2_lT0_lS8_: ; @_ZN9rocsolver6v33100L12restore_diagIdidPKPdEEvPT1_llT2_lT0_lS8_
; %bb.0:
	s_load_dword s0, s[4:5], 0x4c
	s_load_dword s1, s[4:5], 0x38
	s_waitcnt lgkmcnt(0)
	s_lshr_b32 s0, s0, 16
	s_mul_i32 s7, s7, s0
	v_add_u32_e32 v0, s7, v1
	v_cmp_gt_i32_e32 vcc, s1, v0
	s_and_saveexec_b64 s[0:1], vcc
	s_cbranch_execz .LBB23_2
; %bb.1:
	s_load_dwordx8 s[8:15], s[4:5], 0x0
	s_load_dwordx2 s[0:1], s[4:5], 0x20
	s_ashr_i32 s7, s6, 31
	s_lshl_b64 s[2:3], s[6:7], 3
	s_waitcnt lgkmcnt(0)
	s_add_u32 s2, s14, s2
	s_addc_u32 s3, s15, s3
	s_load_dwordx2 s[14:15], s[2:3], 0x0
	s_load_dword s16, s[4:5], 0x28
	s_lshl_b64 s[0:1], s[0:1], 3
	s_mul_hi_u32 s2, s12, s6
	s_mul_i32 s3, s12, s7
	s_waitcnt lgkmcnt(0)
	s_add_u32 s4, s14, s0
	s_addc_u32 s5, s15, s1
	s_add_i32 s0, s2, s3
	s_mul_i32 s1, s13, s6
	s_add_i32 s1, s0, s1
	s_mul_i32 s0, s12, s6
	s_lshl_b64 s[0:1], s[0:1], 3
	s_add_u32 s2, s8, s0
	s_addc_u32 s3, s9, s1
	s_lshl_b64 s[0:1], s[10:11], 3
	s_add_u32 s2, s2, s0
	s_addc_u32 s3, s3, s1
	v_mad_u64_u32 v[2:3], s[0:1], v0, s16, v[0:1]
	v_ashrrev_i32_e32 v1, 31, v0
	v_lshlrev_b64 v[0:1], 3, v[0:1]
	v_mov_b32_e32 v3, s3
	v_add_co_u32_e32 v0, vcc, s2, v0
	v_addc_co_u32_e32 v1, vcc, v3, v1, vcc
	global_load_dwordx2 v[0:1], v[0:1], off
	v_ashrrev_i32_e32 v3, 31, v2
	v_lshlrev_b64 v[2:3], 3, v[2:3]
	v_mov_b32_e32 v4, s5
	v_add_co_u32_e32 v2, vcc, s4, v2
	v_addc_co_u32_e32 v3, vcc, v4, v3, vcc
	s_waitcnt vmcnt(0)
	flat_store_dwordx2 v[2:3], v[0:1]
.LBB23_2:
	s_endpgm
	.section	.rodata,"a",@progbits
	.p2align	6, 0x0
	.amdhsa_kernel _ZN9rocsolver6v33100L12restore_diagIdidPKPdEEvPT1_llT2_lT0_lS8_
		.amdhsa_group_segment_fixed_size 0
		.amdhsa_private_segment_fixed_size 0
		.amdhsa_kernarg_size 320
		.amdhsa_user_sgpr_count 6
		.amdhsa_user_sgpr_private_segment_buffer 1
		.amdhsa_user_sgpr_dispatch_ptr 0
		.amdhsa_user_sgpr_queue_ptr 0
		.amdhsa_user_sgpr_kernarg_segment_ptr 1
		.amdhsa_user_sgpr_dispatch_id 0
		.amdhsa_user_sgpr_flat_scratch_init 0
		.amdhsa_user_sgpr_private_segment_size 0
		.amdhsa_uses_dynamic_stack 0
		.amdhsa_system_sgpr_private_segment_wavefront_offset 0
		.amdhsa_system_sgpr_workgroup_id_x 1
		.amdhsa_system_sgpr_workgroup_id_y 1
		.amdhsa_system_sgpr_workgroup_id_z 0
		.amdhsa_system_sgpr_workgroup_info 0
		.amdhsa_system_vgpr_workitem_id 1
		.amdhsa_next_free_vgpr 5
		.amdhsa_next_free_sgpr 17
		.amdhsa_reserve_vcc 1
		.amdhsa_reserve_flat_scratch 0
		.amdhsa_float_round_mode_32 0
		.amdhsa_float_round_mode_16_64 0
		.amdhsa_float_denorm_mode_32 3
		.amdhsa_float_denorm_mode_16_64 3
		.amdhsa_dx10_clamp 1
		.amdhsa_ieee_mode 1
		.amdhsa_fp16_overflow 0
		.amdhsa_exception_fp_ieee_invalid_op 0
		.amdhsa_exception_fp_denorm_src 0
		.amdhsa_exception_fp_ieee_div_zero 0
		.amdhsa_exception_fp_ieee_overflow 0
		.amdhsa_exception_fp_ieee_underflow 0
		.amdhsa_exception_fp_ieee_inexact 0
		.amdhsa_exception_int_div_zero 0
	.end_amdhsa_kernel
	.section	.text._ZN9rocsolver6v33100L12restore_diagIdidPKPdEEvPT1_llT2_lT0_lS8_,"axG",@progbits,_ZN9rocsolver6v33100L12restore_diagIdidPKPdEEvPT1_llT2_lT0_lS8_,comdat
.Lfunc_end23:
	.size	_ZN9rocsolver6v33100L12restore_diagIdidPKPdEEvPT1_llT2_lT0_lS8_, .Lfunc_end23-_ZN9rocsolver6v33100L12restore_diagIdidPKPdEEvPT1_llT2_lT0_lS8_
                                        ; -- End function
	.set _ZN9rocsolver6v33100L12restore_diagIdidPKPdEEvPT1_llT2_lT0_lS8_.num_vgpr, 5
	.set _ZN9rocsolver6v33100L12restore_diagIdidPKPdEEvPT1_llT2_lT0_lS8_.num_agpr, 0
	.set _ZN9rocsolver6v33100L12restore_diagIdidPKPdEEvPT1_llT2_lT0_lS8_.numbered_sgpr, 17
	.set _ZN9rocsolver6v33100L12restore_diagIdidPKPdEEvPT1_llT2_lT0_lS8_.num_named_barrier, 0
	.set _ZN9rocsolver6v33100L12restore_diagIdidPKPdEEvPT1_llT2_lT0_lS8_.private_seg_size, 0
	.set _ZN9rocsolver6v33100L12restore_diagIdidPKPdEEvPT1_llT2_lT0_lS8_.uses_vcc, 1
	.set _ZN9rocsolver6v33100L12restore_diagIdidPKPdEEvPT1_llT2_lT0_lS8_.uses_flat_scratch, 0
	.set _ZN9rocsolver6v33100L12restore_diagIdidPKPdEEvPT1_llT2_lT0_lS8_.has_dyn_sized_stack, 0
	.set _ZN9rocsolver6v33100L12restore_diagIdidPKPdEEvPT1_llT2_lT0_lS8_.has_recursion, 0
	.set _ZN9rocsolver6v33100L12restore_diagIdidPKPdEEvPT1_llT2_lT0_lS8_.has_indirect_call, 0
	.section	.AMDGPU.csdata,"",@progbits
; Kernel info:
; codeLenInByte = 240
; TotalNumSgprs: 21
; NumVgprs: 5
; ScratchSize: 0
; MemoryBound: 0
; FloatMode: 240
; IeeeMode: 1
; LDSByteSize: 0 bytes/workgroup (compile time only)
; SGPRBlocks: 2
; VGPRBlocks: 1
; NumSGPRsForWavesPerEU: 21
; NumVGPRsForWavesPerEU: 5
; Occupancy: 10
; WaveLimiterHint : 1
; COMPUTE_PGM_RSRC2:SCRATCH_EN: 0
; COMPUTE_PGM_RSRC2:USER_SGPR: 6
; COMPUTE_PGM_RSRC2:TRAP_HANDLER: 0
; COMPUTE_PGM_RSRC2:TGID_X_EN: 1
; COMPUTE_PGM_RSRC2:TGID_Y_EN: 1
; COMPUTE_PGM_RSRC2:TGID_Z_EN: 0
; COMPUTE_PGM_RSRC2:TIDIG_COMP_CNT: 1
	.section	.text._ZN9rocsolver6v33100L14set_triangularIdPKPdTnNSt9enable_ifIXnt18rocblas_is_complexIT_EEiE4typeELi0EEEviiT0_iilPS6_lSA_il15rocblas_direct_15rocblas_storev_b,"axG",@progbits,_ZN9rocsolver6v33100L14set_triangularIdPKPdTnNSt9enable_ifIXnt18rocblas_is_complexIT_EEiE4typeELi0EEEviiT0_iilPS6_lSA_il15rocblas_direct_15rocblas_storev_b,comdat
	.globl	_ZN9rocsolver6v33100L14set_triangularIdPKPdTnNSt9enable_ifIXnt18rocblas_is_complexIT_EEiE4typeELi0EEEviiT0_iilPS6_lSA_il15rocblas_direct_15rocblas_storev_b ; -- Begin function _ZN9rocsolver6v33100L14set_triangularIdPKPdTnNSt9enable_ifIXnt18rocblas_is_complexIT_EEiE4typeELi0EEEviiT0_iilPS6_lSA_il15rocblas_direct_15rocblas_storev_b
	.p2align	8
	.type	_ZN9rocsolver6v33100L14set_triangularIdPKPdTnNSt9enable_ifIXnt18rocblas_is_complexIT_EEiE4typeELi0EEEviiT0_iilPS6_lSA_il15rocblas_direct_15rocblas_storev_b,@function
_ZN9rocsolver6v33100L14set_triangularIdPKPdTnNSt9enable_ifIXnt18rocblas_is_complexIT_EEiE4typeELi0EEEviiT0_iilPS6_lSA_il15rocblas_direct_15rocblas_storev_b: ; @_ZN9rocsolver6v33100L14set_triangularIdPKPdTnNSt9enable_ifIXnt18rocblas_is_complexIT_EEiE4typeELi0EEEviiT0_iilPS6_lSA_il15rocblas_direct_15rocblas_storev_b
; %bb.0:
	s_load_dword s0, s[4:5], 0x64
	s_load_dwordx2 s[10:11], s[4:5], 0x0
	s_waitcnt lgkmcnt(0)
	s_lshr_b32 s1, s0, 16
	s_and_b32 s0, s0, 0xffff
	s_mul_i32 s6, s6, s0
	s_mul_i32 s7, s7, s1
	v_add_u32_e32 v2, s6, v0
	v_add_u32_e32 v0, s7, v1
	v_max_u32_e32 v1, v2, v0
	v_cmp_gt_u32_e32 vcc, s11, v1
	s_and_saveexec_b64 s[0:1], vcc
	s_cbranch_execz .LBB24_36
; %bb.1:
	s_load_dwordx4 s[0:3], s[4:5], 0x20
	s_load_dwordx2 s[6:7], s[4:5], 0x30
	s_load_dword s16, s[4:5], 0x38
	s_load_dwordx2 s[12:13], s[4:5], 0x40
	v_cmp_ne_u32_e32 vcc, v0, v2
	s_waitcnt lgkmcnt(0)
	s_mul_i32 s3, s3, s8
	s_mul_hi_u32 s9, s2, s8
	s_add_i32 s3, s9, s3
	s_mul_i32 s2, s2, s8
	s_lshl_b64 s[2:3], s[2:3], 3
	s_add_u32 s19, s0, s2
	s_addc_u32 s20, s1, s3
	s_mul_i32 s0, s13, s8
	s_mul_hi_u32 s1, s12, s8
	s_add_i32 s1, s1, s0
	s_mul_i32 s0, s12, s8
	s_lshl_b64 s[0:1], s[0:1], 3
	s_add_u32 s17, s6, s0
	s_addc_u32 s18, s7, s1
	s_and_saveexec_b64 s[0:1], vcc
	s_xor_b64 s[6:7], exec, s[0:1]
	s_cbranch_execz .LBB24_34
; %bb.2:
	s_load_dwordx4 s[0:3], s[4:5], 0x8
	s_load_dwordx4 s[12:15], s[4:5], 0x48
	s_mov_b32 s9, 0
	s_lshl_b64 s[4:5], s[8:9], 3
	v_mov_b32_e32 v3, 0
	s_waitcnt lgkmcnt(0)
	s_ashr_i32 s9, s2, 31
	s_add_u32 s0, s0, s4
	s_addc_u32 s1, s1, s5
	s_load_dwordx2 s[0:1], s[0:1], 0x0
	s_mov_b32 s8, s2
	s_lshl_b64 s[4:5], s[8:9], 3
	s_waitcnt lgkmcnt(0)
	s_add_u32 s2, s0, s4
	s_addc_u32 s15, s1, s5
	s_bitcmp1_b32 s14, 0
	s_cselect_b64 s[0:1], -1, 0
	s_xor_b64 s[0:1], s[0:1], -1
	s_mov_b64 s[4:5], -1
	s_cmpk_lg_i32 s12, 0xab
	s_cbranch_scc0 .LBB24_18
; %bb.3:
	v_cmp_le_u32_e32 vcc, v0, v2
	s_and_saveexec_b64 s[4:5], vcc
	s_xor_b64 s[4:5], exec, s[4:5]
	s_cbranch_execz .LBB24_5
; %bb.4:
	v_mad_u64_u32 v[4:5], s[8:9], v2, s16, 0
	s_ashr_i32 s8, s16, 31
	v_mov_b32_e32 v1, v5
	v_mad_u64_u32 v[5:6], s[8:9], v2, s8, v[1:2]
	v_mov_b32_e32 v1, 0
	v_mov_b32_e32 v6, s18
	v_lshlrev_b64 v[4:5], 3, v[4:5]
	v_add_co_u32_e32 v7, vcc, s17, v4
	v_addc_co_u32_e32 v6, vcc, v6, v5, vcc
	v_lshlrev_b64 v[4:5], 3, v[0:1]
	v_add_co_u32_e32 v4, vcc, v7, v4
	v_addc_co_u32_e32 v5, vcc, v6, v5, vcc
	v_mov_b32_e32 v6, v1
	v_mov_b32_e32 v7, v1
	global_store_dwordx2 v[4:5], v[6:7], off
.LBB24_5:
	s_andn2_saveexec_b64 s[4:5], s[4:5]
	s_cbranch_execz .LBB24_17
; %bb.6:
	v_lshlrev_b64 v[4:5], 3, v[2:3]
	v_mov_b32_e32 v1, s20
	v_add_co_u32_e32 v4, vcc, s19, v4
	v_addc_co_u32_e32 v5, vcc, v1, v5, vcc
	global_load_dwordx2 v[4:5], v[4:5], off
	s_cmpk_lg_i32 s13, 0xb5
	s_mov_b64 s[8:9], -1
	s_cbranch_scc0 .LBB24_12
; %bb.7:
	v_mov_b32_e32 v1, 0
	v_lshlrev_b64 v[6:7], 3, v[0:1]
	s_andn2_b64 vcc, exec, s[0:1]
	s_cbranch_vccnz .LBB24_9
; %bb.8:
	s_sub_i32 s8, s10, s11
	v_add_u32_e32 v10, s8, v2
	v_mad_u64_u32 v[8:9], s[8:9], v10, s3, 0
	s_ashr_i32 s8, s3, 31
	v_mov_b32_e32 v1, v9
	v_mad_u64_u32 v[9:10], s[8:9], v10, s8, v[1:2]
	v_mov_b32_e32 v1, s15
	v_mad_u64_u32 v[10:11], s[8:9], v2, s16, 0
	v_lshlrev_b64 v[8:9], 3, v[8:9]
	s_ashr_i32 s8, s16, 31
	v_add_co_u32_e32 v8, vcc, s2, v8
	v_addc_co_u32_e32 v1, vcc, v1, v9, vcc
	v_add_co_u32_e32 v8, vcc, v8, v6
	v_addc_co_u32_e32 v9, vcc, v1, v7, vcc
	flat_load_dwordx2 v[8:9], v[8:9]
	v_mov_b32_e32 v1, v11
	v_mad_u64_u32 v[11:12], s[8:9], v2, s8, v[1:2]
	v_mov_b32_e32 v1, s18
	s_mov_b64 s[8:9], 0
	v_lshlrev_b64 v[10:11], 3, v[10:11]
	v_add_co_u32_e32 v10, vcc, s17, v10
	v_addc_co_u32_e32 v1, vcc, v1, v11, vcc
	v_add_co_u32_e32 v10, vcc, v10, v6
	v_addc_co_u32_e32 v11, vcc, v1, v7, vcc
	s_waitcnt vmcnt(0) lgkmcnt(0)
	v_mul_f64 v[8:9], v[8:9], -v[4:5]
	global_store_dwordx2 v[10:11], v[8:9], off
.LBB24_9:
	s_andn2_b64 vcc, exec, s[8:9]
	s_cbranch_vccnz .LBB24_11
; %bb.10:
	v_mad_u64_u32 v[8:9], s[8:9], v2, s16, 0
	s_ashr_i32 s8, s16, 31
	v_mov_b32_e32 v1, v9
	v_mad_u64_u32 v[9:10], s[8:9], v2, s8, v[1:2]
	s_sub_i32 s8, s10, s11
	v_add_u32_e32 v12, s8, v2
	v_mad_u64_u32 v[10:11], s[8:9], v12, s3, 0
	v_lshlrev_b64 v[8:9], 3, v[8:9]
	v_mov_b32_e32 v1, s18
	v_add_co_u32_e32 v13, vcc, s17, v8
	v_addc_co_u32_e32 v14, vcc, v1, v9, vcc
	s_ashr_i32 s8, s3, 31
	v_mov_b32_e32 v1, v11
	v_mad_u64_u32 v[8:9], s[8:9], v12, s8, v[1:2]
	v_add_co_u32_e32 v12, vcc, v13, v6
	v_mov_b32_e32 v11, v8
	v_lshlrev_b64 v[8:9], 3, v[10:11]
	v_addc_co_u32_e32 v13, vcc, v14, v7, vcc
	v_mov_b32_e32 v1, s15
	v_add_co_u32_e32 v8, vcc, s2, v8
	v_addc_co_u32_e32 v1, vcc, v1, v9, vcc
	v_add_co_u32_e32 v6, vcc, v8, v6
	v_addc_co_u32_e32 v7, vcc, v1, v7, vcc
	global_load_dwordx2 v[14:15], v[12:13], off
	s_nop 0
	flat_load_dwordx2 v[6:7], v[6:7]
	s_waitcnt vmcnt(0) lgkmcnt(0)
	v_add_f64 v[6:7], v[14:15], v[6:7]
	v_mul_f64 v[6:7], v[6:7], -v[4:5]
	global_store_dwordx2 v[12:13], v[6:7], off
.LBB24_11:
	s_mov_b64 s[8:9], 0
.LBB24_12:
	s_andn2_b64 vcc, exec, s[8:9]
	s_cbranch_vccnz .LBB24_17
; %bb.13:
	s_andn2_b64 vcc, exec, s[0:1]
	s_mov_b64 s[8:9], -1
	s_cbranch_vccnz .LBB24_15
; %bb.14:
	v_mad_u64_u32 v[6:7], s[8:9], v0, s3, 0
	s_ashr_i32 s8, s3, 31
	v_mov_b32_e32 v9, 0
	v_mov_b32_e32 v1, v7
	v_mad_u64_u32 v[7:8], s[8:9], v0, s8, v[1:2]
	s_sub_i32 s8, s10, s11
	v_add_u32_e32 v8, s8, v2
	v_lshlrev_b64 v[6:7], 3, v[6:7]
	v_mov_b32_e32 v1, s15
	v_add_co_u32_e32 v10, vcc, s2, v6
	v_addc_co_u32_e32 v1, vcc, v1, v7, vcc
	v_lshlrev_b64 v[6:7], 3, v[8:9]
	v_add_co_u32_e32 v6, vcc, v10, v6
	v_addc_co_u32_e32 v7, vcc, v1, v7, vcc
	flat_load_dwordx2 v[6:7], v[6:7]
	v_mad_u64_u32 v[10:11], s[8:9], v2, s16, 0
	s_ashr_i32 s8, s16, 31
	v_mov_b32_e32 v1, v11
	v_mad_u64_u32 v[11:12], s[8:9], v2, s8, v[1:2]
	v_mov_b32_e32 v1, v9
	v_mov_b32_e32 v12, s18
	v_lshlrev_b64 v[10:11], 3, v[10:11]
	v_lshlrev_b64 v[8:9], 3, v[0:1]
	v_add_co_u32_e32 v1, vcc, s17, v10
	v_addc_co_u32_e32 v10, vcc, v12, v11, vcc
	v_add_co_u32_e32 v8, vcc, v1, v8
	v_addc_co_u32_e32 v9, vcc, v10, v9, vcc
	s_mov_b64 s[8:9], 0
	s_waitcnt vmcnt(0) lgkmcnt(0)
	v_mul_f64 v[6:7], v[6:7], -v[4:5]
	global_store_dwordx2 v[8:9], v[6:7], off
.LBB24_15:
	s_andn2_b64 vcc, exec, s[8:9]
	s_cbranch_vccnz .LBB24_17
; %bb.16:
	v_mad_u64_u32 v[6:7], s[8:9], v2, s16, 0
	s_ashr_i32 s8, s16, 31
	v_mov_b32_e32 v1, v7
	v_mad_u64_u32 v[7:8], s[8:9], v2, s8, v[1:2]
	v_mov_b32_e32 v1, 0
	v_mov_b32_e32 v8, s18
	v_lshlrev_b64 v[6:7], 3, v[6:7]
	v_mov_b32_e32 v14, v1
	v_add_co_u32_e32 v10, vcc, s17, v6
	v_addc_co_u32_e32 v11, vcc, v8, v7, vcc
	v_lshlrev_b64 v[6:7], 3, v[0:1]
	v_mad_u64_u32 v[8:9], s[8:9], v0, s3, 0
	v_add_co_u32_e32 v6, vcc, v10, v6
	v_addc_co_u32_e32 v7, vcc, v11, v7, vcc
	global_load_dwordx2 v[10:11], v[6:7], off
	s_ashr_i32 s8, s3, 31
	v_mov_b32_e32 v1, s15
	s_waitcnt vmcnt(0)
	v_mad_u64_u32 v[12:13], s[8:9], v0, s8, v[9:10]
	s_sub_i32 s8, s10, s11
	v_add_u32_e32 v13, s8, v2
	v_mov_b32_e32 v9, v12
	v_lshlrev_b64 v[8:9], 3, v[8:9]
	v_add_co_u32_e32 v12, vcc, s2, v8
	v_addc_co_u32_e32 v1, vcc, v1, v9, vcc
	v_lshlrev_b64 v[8:9], 3, v[13:14]
	v_add_co_u32_e32 v8, vcc, v12, v8
	v_addc_co_u32_e32 v9, vcc, v1, v9, vcc
	flat_load_dwordx2 v[8:9], v[8:9]
	s_waitcnt vmcnt(0) lgkmcnt(0)
	v_add_f64 v[8:9], v[10:11], v[8:9]
	v_mul_f64 v[4:5], v[8:9], -v[4:5]
	global_store_dwordx2 v[6:7], v[4:5], off
.LBB24_17:
	s_or_b64 exec, exec, s[4:5]
	s_mov_b64 s[4:5], 0
.LBB24_18:
	s_andn2_b64 vcc, exec, s[4:5]
	s_cbranch_vccnz .LBB24_34
; %bb.19:
	v_cmp_ge_u32_e32 vcc, v0, v2
	s_and_saveexec_b64 s[4:5], vcc
	s_xor_b64 s[4:5], exec, s[4:5]
	s_cbranch_execz .LBB24_21
; %bb.20:
	s_waitcnt vmcnt(0)
	v_mad_u64_u32 v[3:4], s[8:9], v2, s16, 0
	s_ashr_i32 s8, s16, 31
	v_mov_b32_e32 v1, v4
	v_mad_u64_u32 v[4:5], s[8:9], v2, s8, v[1:2]
	v_mov_b32_e32 v1, 0
	v_mov_b32_e32 v5, s18
	v_lshlrev_b64 v[2:3], 3, v[3:4]
	v_add_co_u32_e32 v4, vcc, s17, v2
	v_addc_co_u32_e32 v5, vcc, v5, v3, vcc
	v_lshlrev_b64 v[2:3], 3, v[0:1]
	v_mov_b32_e32 v0, v1
	v_add_co_u32_e32 v2, vcc, v4, v2
	v_addc_co_u32_e32 v3, vcc, v5, v3, vcc
	global_store_dwordx2 v[2:3], v[0:1], off
                                        ; implicit-def: $vgpr2_vgpr3
                                        ; implicit-def: $vgpr0
.LBB24_21:
	s_andn2_saveexec_b64 s[4:5], s[4:5]
	s_cbranch_execz .LBB24_33
; %bb.22:
	s_waitcnt vmcnt(0)
	v_lshlrev_b64 v[3:4], 3, v[2:3]
	v_mov_b32_e32 v1, s20
	v_add_co_u32_e32 v5, vcc, s19, v3
	v_addc_co_u32_e32 v6, vcc, v1, v4, vcc
	global_load_dwordx2 v[5:6], v[5:6], off
	v_cndmask_b32_e64 v7, 0, 1, s[0:1]
	s_cmpk_lg_i32 s13, 0xb5
	v_mov_b32_e32 v1, 0
	s_mov_b64 s[8:9], -1
	v_cmp_ne_u32_e64 s[0:1], 1, v7
	s_cbranch_scc0 .LBB24_28
; %bb.23:
	s_and_b64 vcc, exec, s[0:1]
	s_cbranch_vccnz .LBB24_25
; %bb.24:
	v_mad_u64_u32 v[7:8], s[8:9], v2, s3, 0
	s_ashr_i32 s8, s3, 31
	v_mad_u64_u32 v[8:9], s[8:9], v2, s8, v[8:9]
	v_mov_b32_e32 v9, s15
	v_lshlrev_b64 v[7:8], 3, v[7:8]
	v_add_co_u32_e32 v10, vcc, s2, v7
	v_addc_co_u32_e32 v11, vcc, v9, v8, vcc
	v_lshlrev_b64 v[7:8], 3, v[0:1]
	v_add_co_u32_e32 v9, vcc, v10, v7
	v_addc_co_u32_e32 v10, vcc, v11, v8, vcc
	flat_load_dwordx2 v[9:10], v[9:10]
	v_mad_u64_u32 v[11:12], s[8:9], v2, s16, 0
	s_ashr_i32 s8, s16, 31
	v_mad_u64_u32 v[12:13], s[8:9], v2, s8, v[12:13]
	v_mov_b32_e32 v13, s18
	s_mov_b64 s[8:9], 0
	v_lshlrev_b64 v[11:12], 3, v[11:12]
	v_add_co_u32_e32 v11, vcc, s17, v11
	v_addc_co_u32_e32 v12, vcc, v13, v12, vcc
	v_add_co_u32_e32 v7, vcc, v11, v7
	v_addc_co_u32_e32 v8, vcc, v12, v8, vcc
	s_waitcnt vmcnt(0) lgkmcnt(0)
	v_mul_f64 v[9:10], v[9:10], -v[5:6]
	global_store_dwordx2 v[7:8], v[9:10], off
.LBB24_25:
	s_andn2_b64 vcc, exec, s[8:9]
	s_cbranch_vccnz .LBB24_27
; %bb.26:
	v_mad_u64_u32 v[7:8], s[8:9], v2, s16, 0
	s_ashr_i32 s8, s16, 31
	v_mov_b32_e32 v11, s18
	v_mad_u64_u32 v[8:9], s[8:9], v2, s8, v[8:9]
	v_mad_u64_u32 v[9:10], s[8:9], v2, s3, 0
	v_lshlrev_b64 v[7:8], 3, v[7:8]
	s_ashr_i32 s8, s3, 31
	v_add_co_u32_e32 v12, vcc, s17, v7
	v_addc_co_u32_e32 v13, vcc, v11, v8, vcc
	v_mad_u64_u32 v[10:11], s[8:9], v2, s8, v[10:11]
	v_lshlrev_b64 v[7:8], 3, v[0:1]
	v_mov_b32_e32 v15, s15
	v_add_co_u32_e32 v11, vcc, v12, v7
	v_lshlrev_b64 v[9:10], 3, v[9:10]
	v_addc_co_u32_e32 v12, vcc, v13, v8, vcc
	v_add_co_u32_e32 v9, vcc, s2, v9
	v_addc_co_u32_e32 v10, vcc, v15, v10, vcc
	v_add_co_u32_e32 v7, vcc, v9, v7
	v_addc_co_u32_e32 v8, vcc, v10, v8, vcc
	global_load_dwordx2 v[13:14], v[11:12], off
	s_nop 0
	flat_load_dwordx2 v[7:8], v[7:8]
	s_waitcnt vmcnt(0) lgkmcnt(0)
	v_add_f64 v[7:8], v[13:14], v[7:8]
	v_mul_f64 v[7:8], v[7:8], -v[5:6]
	global_store_dwordx2 v[11:12], v[7:8], off
.LBB24_27:
	s_mov_b64 s[8:9], 0
.LBB24_28:
	s_andn2_b64 vcc, exec, s[8:9]
	s_cbranch_vccnz .LBB24_33
; %bb.29:
	v_lshlrev_b64 v[7:8], 3, v[0:1]
	s_and_b64 vcc, exec, s[0:1]
	s_mov_b64 s[0:1], -1
	s_cbranch_vccnz .LBB24_31
; %bb.30:
	v_mad_u64_u32 v[9:10], s[0:1], v0, s3, 0
	s_ashr_i32 s0, s3, 31
	v_mov_b32_e32 v1, v10
	v_mad_u64_u32 v[10:11], s[0:1], v0, s0, v[1:2]
	v_mov_b32_e32 v1, s15
	v_mad_u64_u32 v[11:12], s[0:1], v2, s16, 0
	v_lshlrev_b64 v[9:10], 3, v[9:10]
	s_ashr_i32 s0, s16, 31
	v_add_co_u32_e32 v9, vcc, s2, v9
	v_addc_co_u32_e32 v1, vcc, v1, v10, vcc
	v_add_co_u32_e32 v9, vcc, v9, v3
	v_addc_co_u32_e32 v10, vcc, v1, v4, vcc
	flat_load_dwordx2 v[9:10], v[9:10]
	v_mov_b32_e32 v1, v12
	v_mad_u64_u32 v[12:13], s[0:1], v2, s0, v[1:2]
	v_mov_b32_e32 v1, s18
	s_mov_b64 s[0:1], 0
	v_lshlrev_b64 v[11:12], 3, v[11:12]
	v_add_co_u32_e32 v11, vcc, s17, v11
	v_addc_co_u32_e32 v1, vcc, v1, v12, vcc
	v_add_co_u32_e32 v11, vcc, v11, v7
	v_addc_co_u32_e32 v12, vcc, v1, v8, vcc
	s_waitcnt vmcnt(0) lgkmcnt(0)
	v_mul_f64 v[9:10], v[9:10], -v[5:6]
	global_store_dwordx2 v[11:12], v[9:10], off
.LBB24_31:
	s_andn2_b64 vcc, exec, s[0:1]
	s_cbranch_vccnz .LBB24_33
; %bb.32:
	v_mad_u64_u32 v[9:10], s[0:1], v2, s16, 0
	s_ashr_i32 s0, s16, 31
	v_mov_b32_e32 v13, s18
	v_mov_b32_e32 v1, v10
	v_mad_u64_u32 v[1:2], s[0:1], v2, s0, v[1:2]
	v_mad_u64_u32 v[11:12], s[0:1], v0, s3, 0
	v_mov_b32_e32 v10, v1
	v_lshlrev_b64 v[1:2], 3, v[9:10]
	s_ashr_i32 s0, s3, 31
	v_add_co_u32_e32 v9, vcc, s17, v1
	v_addc_co_u32_e32 v2, vcc, v13, v2, vcc
	v_mov_b32_e32 v1, v12
	v_mad_u64_u32 v[0:1], s[0:1], v0, s0, v[1:2]
	v_add_co_u32_e32 v1, vcc, v9, v7
	v_mov_b32_e32 v12, v0
	v_lshlrev_b64 v[9:10], 3, v[11:12]
	v_addc_co_u32_e32 v2, vcc, v2, v8, vcc
	v_mov_b32_e32 v0, s15
	v_add_co_u32_e32 v9, vcc, s2, v9
	v_addc_co_u32_e32 v0, vcc, v0, v10, vcc
	v_add_co_u32_e32 v3, vcc, v9, v3
	v_addc_co_u32_e32 v4, vcc, v0, v4, vcc
	global_load_dwordx2 v[7:8], v[1:2], off
	s_nop 0
	flat_load_dwordx2 v[3:4], v[3:4]
	s_waitcnt vmcnt(0) lgkmcnt(0)
	v_add_f64 v[3:4], v[7:8], v[3:4]
	v_mul_f64 v[3:4], v[3:4], -v[5:6]
	global_store_dwordx2 v[1:2], v[3:4], off
.LBB24_33:
	s_or_b64 exec, exec, s[4:5]
                                        ; implicit-def: $vgpr2
.LBB24_34:
	s_andn2_saveexec_b64 s[0:1], s[6:7]
	s_cbranch_execz .LBB24_36
; %bb.35:
	v_mov_b32_e32 v3, 0
	v_lshlrev_b64 v[0:1], 3, v[2:3]
	s_waitcnt vmcnt(0)
	v_mov_b32_e32 v4, s20
	v_add_co_u32_e32 v3, vcc, s19, v0
	v_addc_co_u32_e32 v4, vcc, v4, v1, vcc
	global_load_dwordx2 v[3:4], v[3:4], off
	v_mad_u64_u32 v[5:6], s[0:1], v2, s16, 0
	s_ashr_i32 s0, s16, 31
	v_mad_u64_u32 v[6:7], s[0:1], v2, s0, v[6:7]
	v_mov_b32_e32 v2, s18
	v_lshlrev_b64 v[5:6], 3, v[5:6]
	v_add_co_u32_e32 v5, vcc, s17, v5
	v_addc_co_u32_e32 v2, vcc, v2, v6, vcc
	v_add_co_u32_e32 v0, vcc, v5, v0
	v_addc_co_u32_e32 v1, vcc, v2, v1, vcc
	s_waitcnt vmcnt(0)
	global_store_dwordx2 v[0:1], v[3:4], off
.LBB24_36:
	s_endpgm
	.section	.rodata,"a",@progbits
	.p2align	6, 0x0
	.amdhsa_kernel _ZN9rocsolver6v33100L14set_triangularIdPKPdTnNSt9enable_ifIXnt18rocblas_is_complexIT_EEiE4typeELi0EEEviiT0_iilPS6_lSA_il15rocblas_direct_15rocblas_storev_b
		.amdhsa_group_segment_fixed_size 0
		.amdhsa_private_segment_fixed_size 0
		.amdhsa_kernarg_size 344
		.amdhsa_user_sgpr_count 6
		.amdhsa_user_sgpr_private_segment_buffer 1
		.amdhsa_user_sgpr_dispatch_ptr 0
		.amdhsa_user_sgpr_queue_ptr 0
		.amdhsa_user_sgpr_kernarg_segment_ptr 1
		.amdhsa_user_sgpr_dispatch_id 0
		.amdhsa_user_sgpr_flat_scratch_init 0
		.amdhsa_user_sgpr_private_segment_size 0
		.amdhsa_uses_dynamic_stack 0
		.amdhsa_system_sgpr_private_segment_wavefront_offset 0
		.amdhsa_system_sgpr_workgroup_id_x 1
		.amdhsa_system_sgpr_workgroup_id_y 1
		.amdhsa_system_sgpr_workgroup_id_z 1
		.amdhsa_system_sgpr_workgroup_info 0
		.amdhsa_system_vgpr_workitem_id 1
		.amdhsa_next_free_vgpr 16
		.amdhsa_next_free_sgpr 21
		.amdhsa_reserve_vcc 1
		.amdhsa_reserve_flat_scratch 0
		.amdhsa_float_round_mode_32 0
		.amdhsa_float_round_mode_16_64 0
		.amdhsa_float_denorm_mode_32 3
		.amdhsa_float_denorm_mode_16_64 3
		.amdhsa_dx10_clamp 1
		.amdhsa_ieee_mode 1
		.amdhsa_fp16_overflow 0
		.amdhsa_exception_fp_ieee_invalid_op 0
		.amdhsa_exception_fp_denorm_src 0
		.amdhsa_exception_fp_ieee_div_zero 0
		.amdhsa_exception_fp_ieee_overflow 0
		.amdhsa_exception_fp_ieee_underflow 0
		.amdhsa_exception_fp_ieee_inexact 0
		.amdhsa_exception_int_div_zero 0
	.end_amdhsa_kernel
	.section	.text._ZN9rocsolver6v33100L14set_triangularIdPKPdTnNSt9enable_ifIXnt18rocblas_is_complexIT_EEiE4typeELi0EEEviiT0_iilPS6_lSA_il15rocblas_direct_15rocblas_storev_b,"axG",@progbits,_ZN9rocsolver6v33100L14set_triangularIdPKPdTnNSt9enable_ifIXnt18rocblas_is_complexIT_EEiE4typeELi0EEEviiT0_iilPS6_lSA_il15rocblas_direct_15rocblas_storev_b,comdat
.Lfunc_end24:
	.size	_ZN9rocsolver6v33100L14set_triangularIdPKPdTnNSt9enable_ifIXnt18rocblas_is_complexIT_EEiE4typeELi0EEEviiT0_iilPS6_lSA_il15rocblas_direct_15rocblas_storev_b, .Lfunc_end24-_ZN9rocsolver6v33100L14set_triangularIdPKPdTnNSt9enable_ifIXnt18rocblas_is_complexIT_EEiE4typeELi0EEEviiT0_iilPS6_lSA_il15rocblas_direct_15rocblas_storev_b
                                        ; -- End function
	.set _ZN9rocsolver6v33100L14set_triangularIdPKPdTnNSt9enable_ifIXnt18rocblas_is_complexIT_EEiE4typeELi0EEEviiT0_iilPS6_lSA_il15rocblas_direct_15rocblas_storev_b.num_vgpr, 16
	.set _ZN9rocsolver6v33100L14set_triangularIdPKPdTnNSt9enable_ifIXnt18rocblas_is_complexIT_EEiE4typeELi0EEEviiT0_iilPS6_lSA_il15rocblas_direct_15rocblas_storev_b.num_agpr, 0
	.set _ZN9rocsolver6v33100L14set_triangularIdPKPdTnNSt9enable_ifIXnt18rocblas_is_complexIT_EEiE4typeELi0EEEviiT0_iilPS6_lSA_il15rocblas_direct_15rocblas_storev_b.numbered_sgpr, 21
	.set _ZN9rocsolver6v33100L14set_triangularIdPKPdTnNSt9enable_ifIXnt18rocblas_is_complexIT_EEiE4typeELi0EEEviiT0_iilPS6_lSA_il15rocblas_direct_15rocblas_storev_b.num_named_barrier, 0
	.set _ZN9rocsolver6v33100L14set_triangularIdPKPdTnNSt9enable_ifIXnt18rocblas_is_complexIT_EEiE4typeELi0EEEviiT0_iilPS6_lSA_il15rocblas_direct_15rocblas_storev_b.private_seg_size, 0
	.set _ZN9rocsolver6v33100L14set_triangularIdPKPdTnNSt9enable_ifIXnt18rocblas_is_complexIT_EEiE4typeELi0EEEviiT0_iilPS6_lSA_il15rocblas_direct_15rocblas_storev_b.uses_vcc, 1
	.set _ZN9rocsolver6v33100L14set_triangularIdPKPdTnNSt9enable_ifIXnt18rocblas_is_complexIT_EEiE4typeELi0EEEviiT0_iilPS6_lSA_il15rocblas_direct_15rocblas_storev_b.uses_flat_scratch, 0
	.set _ZN9rocsolver6v33100L14set_triangularIdPKPdTnNSt9enable_ifIXnt18rocblas_is_complexIT_EEiE4typeELi0EEEviiT0_iilPS6_lSA_il15rocblas_direct_15rocblas_storev_b.has_dyn_sized_stack, 0
	.set _ZN9rocsolver6v33100L14set_triangularIdPKPdTnNSt9enable_ifIXnt18rocblas_is_complexIT_EEiE4typeELi0EEEviiT0_iilPS6_lSA_il15rocblas_direct_15rocblas_storev_b.has_recursion, 0
	.set _ZN9rocsolver6v33100L14set_triangularIdPKPdTnNSt9enable_ifIXnt18rocblas_is_complexIT_EEiE4typeELi0EEEviiT0_iilPS6_lSA_il15rocblas_direct_15rocblas_storev_b.has_indirect_call, 0
	.section	.AMDGPU.csdata,"",@progbits
; Kernel info:
; codeLenInByte = 2068
; TotalNumSgprs: 25
; NumVgprs: 16
; ScratchSize: 0
; MemoryBound: 0
; FloatMode: 240
; IeeeMode: 1
; LDSByteSize: 0 bytes/workgroup (compile time only)
; SGPRBlocks: 3
; VGPRBlocks: 3
; NumSGPRsForWavesPerEU: 25
; NumVGPRsForWavesPerEU: 16
; Occupancy: 10
; WaveLimiterHint : 1
; COMPUTE_PGM_RSRC2:SCRATCH_EN: 0
; COMPUTE_PGM_RSRC2:USER_SGPR: 6
; COMPUTE_PGM_RSRC2:TRAP_HANDLER: 0
; COMPUTE_PGM_RSRC2:TGID_X_EN: 1
; COMPUTE_PGM_RSRC2:TGID_Y_EN: 1
; COMPUTE_PGM_RSRC2:TGID_Z_EN: 1
; COMPUTE_PGM_RSRC2:TIDIG_COMP_CNT: 1
	.section	.text._ZN9rocsolver6v33100L7set_tauIdEEviPT_l,"axG",@progbits,_ZN9rocsolver6v33100L7set_tauIdEEviPT_l,comdat
	.globl	_ZN9rocsolver6v33100L7set_tauIdEEviPT_l ; -- Begin function _ZN9rocsolver6v33100L7set_tauIdEEviPT_l
	.p2align	8
	.type	_ZN9rocsolver6v33100L7set_tauIdEEviPT_l,@function
_ZN9rocsolver6v33100L7set_tauIdEEviPT_l: ; @_ZN9rocsolver6v33100L7set_tauIdEEviPT_l
; %bb.0:
	s_load_dword s0, s[4:5], 0x24
	s_load_dword s1, s[4:5], 0x0
	s_waitcnt lgkmcnt(0)
	s_and_b32 s0, s0, 0xffff
	s_mul_i32 s6, s6, s0
	v_add_u32_e32 v0, s6, v0
	v_cmp_gt_u32_e32 vcc, s1, v0
	s_and_saveexec_b64 s[0:1], vcc
	s_cbranch_execz .LBB25_2
; %bb.1:
	s_load_dwordx4 s[0:3], s[4:5], 0x8
	v_mov_b32_e32 v1, 0
	v_lshlrev_b64 v[0:1], 3, v[0:1]
	s_waitcnt lgkmcnt(0)
	s_mul_i32 s3, s3, s7
	s_mul_hi_u32 s4, s2, s7
	s_mul_i32 s2, s2, s7
	s_add_i32 s3, s4, s3
	s_lshl_b64 s[2:3], s[2:3], 3
	s_add_u32 s0, s0, s2
	s_addc_u32 s1, s1, s3
	v_mov_b32_e32 v2, s1
	v_add_co_u32_e32 v0, vcc, s0, v0
	v_addc_co_u32_e32 v1, vcc, v2, v1, vcc
	global_load_dwordx2 v[2:3], v[0:1], off
	s_waitcnt vmcnt(0)
	v_xor_b32_e32 v3, 0x80000000, v3
	global_store_dwordx2 v[0:1], v[2:3], off
.LBB25_2:
	s_endpgm
	.section	.rodata,"a",@progbits
	.p2align	6, 0x0
	.amdhsa_kernel _ZN9rocsolver6v33100L7set_tauIdEEviPT_l
		.amdhsa_group_segment_fixed_size 0
		.amdhsa_private_segment_fixed_size 0
		.amdhsa_kernarg_size 280
		.amdhsa_user_sgpr_count 6
		.amdhsa_user_sgpr_private_segment_buffer 1
		.amdhsa_user_sgpr_dispatch_ptr 0
		.amdhsa_user_sgpr_queue_ptr 0
		.amdhsa_user_sgpr_kernarg_segment_ptr 1
		.amdhsa_user_sgpr_dispatch_id 0
		.amdhsa_user_sgpr_flat_scratch_init 0
		.amdhsa_user_sgpr_private_segment_size 0
		.amdhsa_uses_dynamic_stack 0
		.amdhsa_system_sgpr_private_segment_wavefront_offset 0
		.amdhsa_system_sgpr_workgroup_id_x 1
		.amdhsa_system_sgpr_workgroup_id_y 1
		.amdhsa_system_sgpr_workgroup_id_z 0
		.amdhsa_system_sgpr_workgroup_info 0
		.amdhsa_system_vgpr_workitem_id 0
		.amdhsa_next_free_vgpr 4
		.amdhsa_next_free_sgpr 8
		.amdhsa_reserve_vcc 1
		.amdhsa_reserve_flat_scratch 0
		.amdhsa_float_round_mode_32 0
		.amdhsa_float_round_mode_16_64 0
		.amdhsa_float_denorm_mode_32 3
		.amdhsa_float_denorm_mode_16_64 3
		.amdhsa_dx10_clamp 1
		.amdhsa_ieee_mode 1
		.amdhsa_fp16_overflow 0
		.amdhsa_exception_fp_ieee_invalid_op 0
		.amdhsa_exception_fp_denorm_src 0
		.amdhsa_exception_fp_ieee_div_zero 0
		.amdhsa_exception_fp_ieee_overflow 0
		.amdhsa_exception_fp_ieee_underflow 0
		.amdhsa_exception_fp_ieee_inexact 0
		.amdhsa_exception_int_div_zero 0
	.end_amdhsa_kernel
	.section	.text._ZN9rocsolver6v33100L7set_tauIdEEviPT_l,"axG",@progbits,_ZN9rocsolver6v33100L7set_tauIdEEviPT_l,comdat
.Lfunc_end25:
	.size	_ZN9rocsolver6v33100L7set_tauIdEEviPT_l, .Lfunc_end25-_ZN9rocsolver6v33100L7set_tauIdEEviPT_l
                                        ; -- End function
	.set _ZN9rocsolver6v33100L7set_tauIdEEviPT_l.num_vgpr, 4
	.set _ZN9rocsolver6v33100L7set_tauIdEEviPT_l.num_agpr, 0
	.set _ZN9rocsolver6v33100L7set_tauIdEEviPT_l.numbered_sgpr, 8
	.set _ZN9rocsolver6v33100L7set_tauIdEEviPT_l.num_named_barrier, 0
	.set _ZN9rocsolver6v33100L7set_tauIdEEviPT_l.private_seg_size, 0
	.set _ZN9rocsolver6v33100L7set_tauIdEEviPT_l.uses_vcc, 1
	.set _ZN9rocsolver6v33100L7set_tauIdEEviPT_l.uses_flat_scratch, 0
	.set _ZN9rocsolver6v33100L7set_tauIdEEviPT_l.has_dyn_sized_stack, 0
	.set _ZN9rocsolver6v33100L7set_tauIdEEviPT_l.has_recursion, 0
	.set _ZN9rocsolver6v33100L7set_tauIdEEviPT_l.has_indirect_call, 0
	.section	.AMDGPU.csdata,"",@progbits
; Kernel info:
; codeLenInByte = 144
; TotalNumSgprs: 12
; NumVgprs: 4
; ScratchSize: 0
; MemoryBound: 0
; FloatMode: 240
; IeeeMode: 1
; LDSByteSize: 0 bytes/workgroup (compile time only)
; SGPRBlocks: 1
; VGPRBlocks: 0
; NumSGPRsForWavesPerEU: 12
; NumVGPRsForWavesPerEU: 4
; Occupancy: 10
; WaveLimiterHint : 0
; COMPUTE_PGM_RSRC2:SCRATCH_EN: 0
; COMPUTE_PGM_RSRC2:USER_SGPR: 6
; COMPUTE_PGM_RSRC2:TRAP_HANDLER: 0
; COMPUTE_PGM_RSRC2:TGID_X_EN: 1
; COMPUTE_PGM_RSRC2:TGID_Y_EN: 1
; COMPUTE_PGM_RSRC2:TGID_Z_EN: 0
; COMPUTE_PGM_RSRC2:TIDIG_COMP_CNT: 0
	.section	.text._ZN9rocsolver6v33100L20larft_kernel_forwardIdPKPdEEv15rocblas_storev_iiT0_iilPT_lS8_il,"axG",@progbits,_ZN9rocsolver6v33100L20larft_kernel_forwardIdPKPdEEv15rocblas_storev_iiT0_iilPT_lS8_il,comdat
	.globl	_ZN9rocsolver6v33100L20larft_kernel_forwardIdPKPdEEv15rocblas_storev_iiT0_iilPT_lS8_il ; -- Begin function _ZN9rocsolver6v33100L20larft_kernel_forwardIdPKPdEEv15rocblas_storev_iiT0_iilPT_lS8_il
	.p2align	8
	.type	_ZN9rocsolver6v33100L20larft_kernel_forwardIdPKPdEEv15rocblas_storev_iiT0_iilPT_lS8_il,@function
_ZN9rocsolver6v33100L20larft_kernel_forwardIdPKPdEEv15rocblas_storev_iiT0_iilPT_lS8_il: ; @_ZN9rocsolver6v33100L20larft_kernel_forwardIdPKPdEEv15rocblas_storev_iiT0_iilPT_lS8_il
; %bb.0:
	s_mov_b32 s2, s7
	s_load_dword s33, s[4:5], 0x40
	s_load_dwordx2 s[0:1], s[4:5], 0x48
	s_load_dword s3, s[4:5], 0x5c
	s_load_dwordx4 s[8:11], s[4:5], 0x0
	s_load_dwordx2 s[6:7], s[4:5], 0x10
	s_load_dwordx4 s[12:15], s[4:5], 0x28
	s_load_dwordx2 s[16:17], s[4:5], 0x38
	s_waitcnt lgkmcnt(0)
	s_and_b32 s11, s3, 0xffff
	s_ashr_i32 s3, s2, 31
	s_lshl_b64 s[18:19], s[2:3], 3
	s_add_u32 s6, s6, s18
	s_addc_u32 s7, s7, s19
	s_mul_hi_u32 s18, s0, s2
	s_mul_i32 s19, s0, s3
	s_load_dwordx2 s[6:7], s[6:7], 0x0
	s_add_i32 s18, s18, s19
	s_mul_i32 s1, s1, s2
	s_add_i32 s1, s18, s1
	s_mul_i32 s0, s0, s2
	s_lshl_b64 s[0:1], s[0:1], 3
	s_add_u32 s34, s16, s0
	s_addc_u32 s35, s17, s1
	v_cmp_gt_i32_e64 s[0:1], s10, v0
	v_lshlrev_b32_e32 v8, 3, v0
	s_and_saveexec_b64 s[16:17], s[0:1]
	s_cbranch_execz .LBB26_5
; %bb.1:
	v_add_u32_e32 v1, 8, v8
	v_mul_lo_u32 v1, s10, v1
	s_lshl_b32 s22, s10, 3
	s_add_i32 s23, s22, 8
	s_add_i32 s24, s33, 1
	v_add3_u32 v4, v1, v8, 0
	v_mad_u64_u32 v[1:2], s[18:19], v0, s33, v[0:1]
	s_mul_i32 s23, s23, s11
	s_mul_i32 s24, s24, s11
	s_mov_b64 s[18:19], 0
	v_mov_b32_e32 v5, s35
	v_mov_b32_e32 v6, v0
.LBB26_2:                               ; =>This Loop Header: Depth=1
                                        ;     Child Loop BB26_3 Depth 2
	s_mov_b64 s[20:21], 0
	v_mov_b32_e32 v2, v1
	v_mov_b32_e32 v7, v4
	;; [unrolled: 1-line block ×3, first 2 shown]
.LBB26_3:                               ;   Parent Loop BB26_2 Depth=1
                                        ; =>  This Inner Loop Header: Depth=2
	v_ashrrev_i32_e32 v3, 31, v2
	v_lshlrev_b64 v[10:11], 3, v[2:3]
	v_add_u32_e32 v9, 1, v9
	v_add_co_u32_e32 v10, vcc, s34, v10
	v_addc_co_u32_e32 v11, vcc, v5, v11, vcc
	global_load_dwordx2 v[10:11], v[10:11], off
	v_cmp_le_i32_e32 vcc, s10, v9
	v_add_u32_e32 v2, s33, v2
	s_or_b64 s[20:21], vcc, s[20:21]
	s_waitcnt vmcnt(0)
	ds_write_b64 v7, v[10:11]
	v_add_u32_e32 v7, s22, v7
	s_andn2_b64 exec, exec, s[20:21]
	s_cbranch_execnz .LBB26_3
; %bb.4:                                ;   in Loop: Header=BB26_2 Depth=1
	s_or_b64 exec, exec, s[20:21]
	v_add_u32_e32 v6, s11, v6
	v_cmp_le_i32_e32 vcc, s10, v6
	v_add_u32_e32 v4, s23, v4
	s_or_b64 s[18:19], vcc, s[18:19]
	v_add_u32_e32 v1, s24, v1
	s_andn2_b64 exec, exec, s[18:19]
	s_cbranch_execnz .LBB26_2
.LBB26_5:
	s_or_b64 exec, exec, s[16:17]
	s_cmp_lt_i32 s10, 2
	s_waitcnt lgkmcnt(0)
	s_barrier
	s_cbranch_scc1 .LBB26_30
; %bb.6:
	s_load_dwordx2 s[4:5], s[4:5], 0x18
	s_mul_i32 s3, s14, s3
	s_mul_hi_u32 s16, s14, s2
	s_add_i32 s3, s16, s3
	v_add_u32_e32 v3, 8, v8
	s_waitcnt lgkmcnt(0)
	s_ashr_i32 s17, s4, 31
	s_mov_b32 s16, s4
	s_mul_i32 s4, s15, s2
	s_add_i32 s3, s3, s4
	s_mul_i32 s2, s14, s2
	s_lshl_b64 s[2:3], s[2:3], 3
	s_add_u32 s4, s12, s2
	s_addc_u32 s36, s13, s3
	s_lshl_b32 s37, s10, 3
	s_add_i32 s38, s37, 0
	s_cmpk_lg_i32 s8, 0xb5
	s_cselect_b64 s[14:15], -1, 0
	s_add_i32 s8, s9, -2
	s_lshl_b64 s[2:3], s[16:17], 3
	s_add_u32 s39, s2, 8
	s_addc_u32 s40, s3, 0
	s_ashr_i32 s19, s5, 31
	s_mov_b32 s18, s5
	s_lshl_b32 s16, s5, 1
	s_lshl_b64 s[18:19], s[18:19], 3
	s_lshl_b32 s41, s11, 3
	v_add_co_u32_e32 v1, vcc, s2, v8
	s_add_u32 s2, s6, s2
	v_mul_lo_u32 v3, s10, v3
	v_mov_b32_e32 v2, s3
	s_addc_u32 s3, s7, s3
	v_mul_lo_u32 v9, v0, s5
	s_add_u32 s42, s2, 16
	s_addc_u32 s43, s3, 0
	s_add_i32 s45, s37, 8
	s_mov_b32 s13, 0
	s_mov_b32 s12, 1
	v_addc_co_u32_e32 v2, vcc, 0, v2, vcc
	s_mul_i32 s44, s5, s11
	v_add3_u32 v10, v3, v8, 0
	s_mul_i32 s45, s45, s11
	v_add_u32_e32 v11, 0, v8
	s_mov_b32 s20, s5
	s_branch .LBB26_8
.LBB26_7:                               ;   in Loop: Header=BB26_8 Depth=1
	s_or_b64 exec, exec, s[2:3]
	s_add_i32 s12, s12, 1
	s_add_i32 s8, s8, -1
	s_add_u32 s39, s39, 8
	s_addc_u32 s40, s40, 0
	s_add_i32 s16, s16, s5
	s_add_u32 s42, s42, 8
	s_addc_u32 s43, s43, 0
	s_add_i32 s20, s20, s5
	s_cmp_eq_u32 s12, s10
	s_waitcnt lgkmcnt(0)
	s_barrier
	s_cbranch_scc1 .LBB26_30
.LBB26_8:                               ; =>This Loop Header: Depth=1
                                        ;     Child Loop BB26_12 Depth 2
                                        ;       Child Loop BB26_14 Depth 3
                                        ;     Child Loop BB26_21 Depth 2
                                        ;       Child Loop BB26_23 Depth 3
	;; [unrolled: 2-line block ×3, first 2 shown]
	s_not_b32 s2, s12
	s_add_i32 s47, s9, s2
	s_mul_i32 s2, s12, s10
	s_lshl_b32 s2, s2, 3
	s_add_i32 s46, s38, s2
	s_mov_b64 s[22:23], -1
	s_and_b64 vcc, exec, s[14:15]
	v_cmp_gt_u32_e64 s[2:3], s12, v0
	s_cbranch_vccz .LBB26_16
; %bb.9:                                ;   in Loop: Header=BB26_8 Depth=1
	s_and_saveexec_b64 s[22:23], s[2:3]
	s_cbranch_execz .LBB26_15
; %bb.10:                               ;   in Loop: Header=BB26_8 Depth=1
	s_ashr_i32 s17, s16, 31
	s_lshl_b64 s[2:3], s[16:17], 3
	s_add_u32 s24, s6, s2
	s_addc_u32 s25, s7, s3
	s_cmp_gt_i32 s47, 0
	s_cselect_b64 s[2:3], -1, 0
	s_lshl_b64 s[26:27], s[12:13], 3
	s_add_u32 s26, s4, s26
	s_addc_u32 s27, s36, s27
	s_load_dwordx2 s[26:27], s[26:27], 0x0
	v_cndmask_b32_e64 v3, 0, 1, s[2:3]
	v_cmp_ne_u32_e64 s[2:3], 1, v3
	v_mov_b32_e32 v4, v2
	s_mov_b64 s[28:29], 0
	v_mov_b32_e32 v3, v1
	v_mov_b32_e32 v7, v0
	s_branch .LBB26_12
.LBB26_11:                              ;   in Loop: Header=BB26_12 Depth=2
	v_lshlrev_b32_e32 v14, 3, v7
	v_add_u32_e32 v12, s46, v14
	ds_read_b64 v[12:13], v12
	v_add_u32_e32 v7, s11, v7
	v_cmp_le_u32_e32 vcc, s12, v7
	s_or_b64 s[28:29], vcc, s[28:29]
	v_add_co_u32_e32 v3, vcc, s41, v3
	s_waitcnt lgkmcnt(0)
	v_fma_f64 v[5:6], v[5:6], s[26:27], v[12:13]
	v_add_u32_e32 v12, 0, v14
	v_addc_co_u32_e32 v4, vcc, 0, v4, vcc
	ds_write_b64 v12, v[5:6]
	s_andn2_b64 exec, exec, s[28:29]
	s_cbranch_execz .LBB26_15
.LBB26_12:                              ;   Parent Loop BB26_8 Depth=1
                                        ; =>  This Loop Header: Depth=2
                                        ;       Child Loop BB26_14 Depth 3
	v_mov_b32_e32 v5, 0
	v_mov_b32_e32 v6, 0
	s_and_b64 vcc, exec, s[2:3]
	s_cbranch_vccnz .LBB26_11
; %bb.13:                               ;   in Loop: Header=BB26_12 Depth=2
	s_mov_b32 s17, 0
	s_mov_b64 s[30:31], s[24:25]
.LBB26_14:                              ;   Parent Loop BB26_8 Depth=1
                                        ;     Parent Loop BB26_12 Depth=2
                                        ; =>    This Inner Loop Header: Depth=3
	v_mov_b32_e32 v13, s31
	s_add_u32 s48, s30, s39
	v_add_co_u32_e32 v12, vcc, s30, v3
	v_addc_co_u32_e32 v13, vcc, v13, v4, vcc
	s_addc_u32 s49, s31, s40
	v_mov_b32_e32 v14, s48
	v_mov_b32_e32 v15, s49
	flat_load_dwordx2 v[16:17], v[12:13]
	flat_load_dwordx2 v[18:19], v[14:15]
	s_add_i32 s17, s17, 1
	s_add_u32 s30, s30, s18
	s_addc_u32 s31, s31, s19
	s_cmp_eq_u32 s8, s17
	s_waitcnt vmcnt(0) lgkmcnt(0)
	v_fma_f64 v[5:6], v[16:17], v[18:19], v[5:6]
	s_cbranch_scc0 .LBB26_14
	s_branch .LBB26_11
.LBB26_15:                              ;   in Loop: Header=BB26_8 Depth=1
	s_or_b64 exec, exec, s[22:23]
	s_mov_b64 s[22:23], 0
.LBB26_16:                              ;   in Loop: Header=BB26_8 Depth=1
	s_andn2_b64 vcc, exec, s[22:23]
	s_cbranch_vccnz .LBB26_25
; %bb.17:                               ;   in Loop: Header=BB26_8 Depth=1
	v_cmp_gt_u32_e32 vcc, s12, v0
	s_and_saveexec_b64 s[2:3], vcc
	s_cbranch_execz .LBB26_24
; %bb.18:                               ;   in Loop: Header=BB26_8 Depth=1
	s_ashr_i32 s21, s20, 31
	s_lshl_b64 s[22:23], s[20:21], 3
	s_add_u32 s22, s42, s22
	s_addc_u32 s23, s43, s23
	s_cmp_gt_i32 s47, 0
	s_cselect_b64 s[24:25], -1, 0
	s_lshl_b64 s[26:27], s[12:13], 3
	s_add_u32 s26, s4, s26
	s_addc_u32 s27, s36, s27
	s_load_dwordx2 s[26:27], s[26:27], 0x0
	s_mov_b64 s[28:29], 0
	v_mov_b32_e32 v3, v9
	v_mov_b32_e32 v12, v0
	s_branch .LBB26_21
.LBB26_19:                              ;   in Loop: Header=BB26_21 Depth=2
	v_mov_b32_e32 v4, 0
	v_mov_b32_e32 v5, 0
.LBB26_20:                              ;   in Loop: Header=BB26_21 Depth=2
	v_lshlrev_b32_e32 v13, 3, v12
	v_add_u32_e32 v6, s46, v13
	ds_read_b64 v[6:7], v6
	v_add_u32_e32 v12, s11, v12
	v_cmp_le_u32_e32 vcc, s12, v12
	s_or_b64 s[28:29], vcc, s[28:29]
	v_add_u32_e32 v3, s44, v3
	s_waitcnt lgkmcnt(0)
	v_fma_f64 v[4:5], v[4:5], s[26:27], v[6:7]
	v_add_u32_e32 v6, 0, v13
	ds_write_b64 v6, v[4:5]
	s_andn2_b64 exec, exec, s[28:29]
	s_cbranch_execz .LBB26_24
.LBB26_21:                              ;   Parent Loop BB26_8 Depth=1
                                        ; =>  This Loop Header: Depth=2
                                        ;       Child Loop BB26_23 Depth 3
	s_andn2_b64 vcc, exec, s[24:25]
	s_cbranch_vccnz .LBB26_19
; %bb.22:                               ;   in Loop: Header=BB26_21 Depth=2
	v_ashrrev_i32_e32 v4, 31, v3
	v_lshlrev_b64 v[4:5], 3, v[3:4]
	v_mov_b32_e32 v7, s43
	v_add_co_u32_e32 v6, vcc, s42, v4
	v_addc_co_u32_e32 v7, vcc, v7, v5, vcc
	v_mov_b32_e32 v4, 0
	v_mov_b32_e32 v5, 0
	s_mov_b32 s17, 0
	s_mov_b64 s[30:31], s[22:23]
.LBB26_23:                              ;   Parent Loop BB26_8 Depth=1
                                        ;     Parent Loop BB26_21 Depth=2
                                        ; =>    This Inner Loop Header: Depth=3
	v_mov_b32_e32 v15, s30
	v_mov_b32_e32 v16, s31
	flat_load_dwordx2 v[13:14], v[6:7]
	s_add_i32 s17, s17, 1
	flat_load_dwordx2 v[15:16], v[15:16]
	s_add_u32 s30, s30, 8
	v_add_co_u32_e32 v6, vcc, 8, v6
	s_addc_u32 s31, s31, 0
	s_cmp_eq_u32 s8, s17
	v_addc_co_u32_e32 v7, vcc, 0, v7, vcc
	s_waitcnt vmcnt(0) lgkmcnt(0)
	v_fma_f64 v[4:5], v[13:14], v[15:16], v[4:5]
	s_cbranch_scc0 .LBB26_23
	s_branch .LBB26_20
.LBB26_24:                              ;   in Loop: Header=BB26_8 Depth=1
	s_or_b64 exec, exec, s[2:3]
.LBB26_25:                              ;   in Loop: Header=BB26_8 Depth=1
	v_cmp_gt_u32_e32 vcc, s12, v0
	s_waitcnt lgkmcnt(0)
	s_barrier
	s_and_saveexec_b64 s[2:3], vcc
	s_cbranch_execz .LBB26_7
; %bb.26:                               ;   in Loop: Header=BB26_8 Depth=1
	s_mov_b64 s[22:23], 0
	v_mov_b32_e32 v5, v11
	v_mov_b32_e32 v6, v10
	;; [unrolled: 1-line block ×3, first 2 shown]
.LBB26_27:                              ;   Parent Loop BB26_8 Depth=1
                                        ; =>  This Loop Header: Depth=2
                                        ;       Child Loop BB26_28 Depth 3
	v_mov_b32_e32 v3, 0
	v_mov_b32_e32 v4, 0
	s_mov_b64 s[24:25], 0
	v_mov_b32_e32 v12, v5
	v_mov_b32_e32 v13, v6
	;; [unrolled: 1-line block ×3, first 2 shown]
.LBB26_28:                              ;   Parent Loop BB26_8 Depth=1
                                        ;     Parent Loop BB26_27 Depth=2
                                        ; =>    This Inner Loop Header: Depth=3
	ds_read_b64 v[15:16], v13
	ds_read_b64 v[17:18], v12
	v_add_u32_e32 v14, 1, v14
	v_cmp_le_u32_e32 vcc, s12, v14
	v_add_u32_e32 v13, s37, v13
	s_or_b64 s[24:25], vcc, s[24:25]
	s_waitcnt lgkmcnt(0)
	v_fma_f64 v[3:4], v[15:16], v[17:18], v[3:4]
	v_add_u32_e32 v12, 8, v12
	s_andn2_b64 exec, exec, s[24:25]
	s_cbranch_execnz .LBB26_28
; %bb.29:                               ;   in Loop: Header=BB26_27 Depth=2
	s_or_b64 exec, exec, s[24:25]
	v_lshl_add_u32 v12, v7, 3, s46
	v_add_u32_e32 v7, s11, v7
	v_cmp_le_u32_e32 vcc, s12, v7
	v_add_u32_e32 v6, s45, v6
	s_or_b64 s[22:23], vcc, s[22:23]
	v_add_u32_e32 v5, s41, v5
	ds_write_b64 v12, v[3:4]
	s_andn2_b64 exec, exec, s[22:23]
	s_cbranch_execnz .LBB26_27
	s_branch .LBB26_7
.LBB26_30:
	s_and_saveexec_b64 s[2:3], s[0:1]
	s_cbranch_execz .LBB26_35
; %bb.31:
	v_add_u32_e32 v1, 8, v8
	v_mul_lo_u32 v3, s10, v1
	v_mad_u64_u32 v[1:2], s[0:1], v0, s33, v[0:1]
	s_lshl_b32 s5, s10, 3
	s_add_i32 s4, s33, 1
	s_add_i32 s6, s5, 8
	s_mul_i32 s4, s4, s11
	v_add3_u32 v4, v3, v8, 0
	s_mul_i32 s6, s6, s11
	s_mov_b64 s[0:1], 0
	v_mov_b32_e32 v5, s35
.LBB26_32:                              ; =>This Loop Header: Depth=1
                                        ;     Child Loop BB26_33 Depth 2
	s_mov_b64 s[2:3], 0
	v_mov_b32_e32 v6, v4
	v_mov_b32_e32 v2, v1
	;; [unrolled: 1-line block ×3, first 2 shown]
.LBB26_33:                              ;   Parent Loop BB26_32 Depth=1
                                        ; =>  This Inner Loop Header: Depth=2
	ds_read_b64 v[8:9], v6
	v_ashrrev_i32_e32 v3, 31, v2
	v_add_u32_e32 v7, 1, v7
	v_lshlrev_b64 v[10:11], 3, v[2:3]
	v_cmp_le_i32_e32 vcc, s10, v7
	s_or_b64 s[2:3], vcc, s[2:3]
	v_add_co_u32_e32 v10, vcc, s34, v10
	v_add_u32_e32 v6, s5, v6
	v_add_u32_e32 v2, s33, v2
	v_addc_co_u32_e32 v11, vcc, v5, v11, vcc
	s_waitcnt lgkmcnt(0)
	global_store_dwordx2 v[10:11], v[8:9], off
	s_andn2_b64 exec, exec, s[2:3]
	s_cbranch_execnz .LBB26_33
; %bb.34:                               ;   in Loop: Header=BB26_32 Depth=1
	s_or_b64 exec, exec, s[2:3]
	v_add_u32_e32 v0, s11, v0
	v_cmp_le_i32_e32 vcc, s10, v0
	v_add_u32_e32 v1, s4, v1
	s_or_b64 s[0:1], vcc, s[0:1]
	v_add_u32_e32 v4, s6, v4
	s_andn2_b64 exec, exec, s[0:1]
	s_cbranch_execnz .LBB26_32
.LBB26_35:
	s_endpgm
	.section	.rodata,"a",@progbits
	.p2align	6, 0x0
	.amdhsa_kernel _ZN9rocsolver6v33100L20larft_kernel_forwardIdPKPdEEv15rocblas_storev_iiT0_iilPT_lS8_il
		.amdhsa_group_segment_fixed_size 0
		.amdhsa_private_segment_fixed_size 0
		.amdhsa_kernarg_size 336
		.amdhsa_user_sgpr_count 6
		.amdhsa_user_sgpr_private_segment_buffer 1
		.amdhsa_user_sgpr_dispatch_ptr 0
		.amdhsa_user_sgpr_queue_ptr 0
		.amdhsa_user_sgpr_kernarg_segment_ptr 1
		.amdhsa_user_sgpr_dispatch_id 0
		.amdhsa_user_sgpr_flat_scratch_init 0
		.amdhsa_user_sgpr_private_segment_size 0
		.amdhsa_uses_dynamic_stack 0
		.amdhsa_system_sgpr_private_segment_wavefront_offset 0
		.amdhsa_system_sgpr_workgroup_id_x 1
		.amdhsa_system_sgpr_workgroup_id_y 1
		.amdhsa_system_sgpr_workgroup_id_z 0
		.amdhsa_system_sgpr_workgroup_info 0
		.amdhsa_system_vgpr_workitem_id 0
		.amdhsa_next_free_vgpr 20
		.amdhsa_next_free_sgpr 50
		.amdhsa_reserve_vcc 1
		.amdhsa_reserve_flat_scratch 0
		.amdhsa_float_round_mode_32 0
		.amdhsa_float_round_mode_16_64 0
		.amdhsa_float_denorm_mode_32 3
		.amdhsa_float_denorm_mode_16_64 3
		.amdhsa_dx10_clamp 1
		.amdhsa_ieee_mode 1
		.amdhsa_fp16_overflow 0
		.amdhsa_exception_fp_ieee_invalid_op 0
		.amdhsa_exception_fp_denorm_src 0
		.amdhsa_exception_fp_ieee_div_zero 0
		.amdhsa_exception_fp_ieee_overflow 0
		.amdhsa_exception_fp_ieee_underflow 0
		.amdhsa_exception_fp_ieee_inexact 0
		.amdhsa_exception_int_div_zero 0
	.end_amdhsa_kernel
	.section	.text._ZN9rocsolver6v33100L20larft_kernel_forwardIdPKPdEEv15rocblas_storev_iiT0_iilPT_lS8_il,"axG",@progbits,_ZN9rocsolver6v33100L20larft_kernel_forwardIdPKPdEEv15rocblas_storev_iiT0_iilPT_lS8_il,comdat
.Lfunc_end26:
	.size	_ZN9rocsolver6v33100L20larft_kernel_forwardIdPKPdEEv15rocblas_storev_iiT0_iilPT_lS8_il, .Lfunc_end26-_ZN9rocsolver6v33100L20larft_kernel_forwardIdPKPdEEv15rocblas_storev_iiT0_iilPT_lS8_il
                                        ; -- End function
	.set _ZN9rocsolver6v33100L20larft_kernel_forwardIdPKPdEEv15rocblas_storev_iiT0_iilPT_lS8_il.num_vgpr, 20
	.set _ZN9rocsolver6v33100L20larft_kernel_forwardIdPKPdEEv15rocblas_storev_iiT0_iilPT_lS8_il.num_agpr, 0
	.set _ZN9rocsolver6v33100L20larft_kernel_forwardIdPKPdEEv15rocblas_storev_iiT0_iilPT_lS8_il.numbered_sgpr, 50
	.set _ZN9rocsolver6v33100L20larft_kernel_forwardIdPKPdEEv15rocblas_storev_iiT0_iilPT_lS8_il.num_named_barrier, 0
	.set _ZN9rocsolver6v33100L20larft_kernel_forwardIdPKPdEEv15rocblas_storev_iiT0_iilPT_lS8_il.private_seg_size, 0
	.set _ZN9rocsolver6v33100L20larft_kernel_forwardIdPKPdEEv15rocblas_storev_iiT0_iilPT_lS8_il.uses_vcc, 1
	.set _ZN9rocsolver6v33100L20larft_kernel_forwardIdPKPdEEv15rocblas_storev_iiT0_iilPT_lS8_il.uses_flat_scratch, 0
	.set _ZN9rocsolver6v33100L20larft_kernel_forwardIdPKPdEEv15rocblas_storev_iiT0_iilPT_lS8_il.has_dyn_sized_stack, 0
	.set _ZN9rocsolver6v33100L20larft_kernel_forwardIdPKPdEEv15rocblas_storev_iiT0_iilPT_lS8_il.has_recursion, 0
	.set _ZN9rocsolver6v33100L20larft_kernel_forwardIdPKPdEEv15rocblas_storev_iiT0_iilPT_lS8_il.has_indirect_call, 0
	.section	.AMDGPU.csdata,"",@progbits
; Kernel info:
; codeLenInByte = 1528
; TotalNumSgprs: 54
; NumVgprs: 20
; ScratchSize: 0
; MemoryBound: 0
; FloatMode: 240
; IeeeMode: 1
; LDSByteSize: 0 bytes/workgroup (compile time only)
; SGPRBlocks: 6
; VGPRBlocks: 4
; NumSGPRsForWavesPerEU: 54
; NumVGPRsForWavesPerEU: 20
; Occupancy: 10
; WaveLimiterHint : 0
; COMPUTE_PGM_RSRC2:SCRATCH_EN: 0
; COMPUTE_PGM_RSRC2:USER_SGPR: 6
; COMPUTE_PGM_RSRC2:TRAP_HANDLER: 0
; COMPUTE_PGM_RSRC2:TGID_X_EN: 1
; COMPUTE_PGM_RSRC2:TGID_Y_EN: 1
; COMPUTE_PGM_RSRC2:TGID_Z_EN: 0
; COMPUTE_PGM_RSRC2:TIDIG_COMP_CNT: 0
	.section	.text._ZN9rocsolver6v33100L21larft_kernel_backwardIdPKPdEEv15rocblas_storev_iiT0_iilPT_lS8_il,"axG",@progbits,_ZN9rocsolver6v33100L21larft_kernel_backwardIdPKPdEEv15rocblas_storev_iiT0_iilPT_lS8_il,comdat
	.globl	_ZN9rocsolver6v33100L21larft_kernel_backwardIdPKPdEEv15rocblas_storev_iiT0_iilPT_lS8_il ; -- Begin function _ZN9rocsolver6v33100L21larft_kernel_backwardIdPKPdEEv15rocblas_storev_iiT0_iilPT_lS8_il
	.p2align	8
	.type	_ZN9rocsolver6v33100L21larft_kernel_backwardIdPKPdEEv15rocblas_storev_iiT0_iilPT_lS8_il,@function
_ZN9rocsolver6v33100L21larft_kernel_backwardIdPKPdEEv15rocblas_storev_iiT0_iilPT_lS8_il: ; @_ZN9rocsolver6v33100L21larft_kernel_backwardIdPKPdEEv15rocblas_storev_iiT0_iilPT_lS8_il
; %bb.0:
	s_mov_b32 s6, s7
	s_load_dword s28, s[4:5], 0x40
	s_load_dwordx2 s[0:1], s[4:5], 0x48
	s_load_dword s7, s[4:5], 0x5c
	s_load_dwordx4 s[8:11], s[4:5], 0x0
	s_load_dwordx2 s[2:3], s[4:5], 0x10
	s_load_dwordx4 s[12:15], s[4:5], 0x28
	s_load_dwordx2 s[16:17], s[4:5], 0x38
	s_waitcnt lgkmcnt(0)
	s_and_b32 s11, s7, 0xffff
	s_ashr_i32 s7, s6, 31
	s_lshl_b64 s[18:19], s[6:7], 3
	s_add_u32 s2, s2, s18
	s_addc_u32 s3, s3, s19
	s_mul_hi_u32 s18, s0, s6
	s_mul_i32 s19, s0, s7
	s_load_dwordx2 s[2:3], s[2:3], 0x0
	s_add_i32 s18, s18, s19
	s_mul_i32 s1, s1, s6
	s_add_i32 s1, s18, s1
	s_mul_i32 s0, s0, s6
	s_lshl_b64 s[0:1], s[0:1], 3
	s_add_u32 s29, s16, s0
	s_addc_u32 s30, s17, s1
	v_cmp_gt_i32_e64 s[0:1], s10, v0
	v_add_u32_e32 v8, 1, v0
	s_and_saveexec_b64 s[16:17], s[0:1]
	s_cbranch_execz .LBB27_5
; %bb.1:
	s_lshl_b32 s22, s10, 3
	s_add_i32 s18, s22, 0
	v_add_u32_e32 v3, 1, v0
	v_lshl_add_u32 v4, v0, 3, s18
	s_lshl_b32 s23, s11, 3
	s_mov_b64 s[18:19], 0
	v_mov_b32_e32 v5, s30
	v_mov_b32_e32 v6, v0
.LBB27_2:                               ; =>This Loop Header: Depth=1
                                        ;     Child Loop BB27_3 Depth 2
	s_mov_b64 s[20:21], 0
	v_mov_b32_e32 v1, v6
	v_mov_b32_e32 v7, v4
	s_mov_b32 s24, 0
.LBB27_3:                               ;   Parent Loop BB27_2 Depth=1
                                        ; =>  This Inner Loop Header: Depth=2
	v_ashrrev_i32_e32 v2, 31, v1
	v_lshlrev_b64 v[9:10], 3, v[1:2]
	s_add_i32 s24, s24, 1
	v_add_co_u32_e32 v9, vcc, s29, v9
	v_addc_co_u32_e32 v10, vcc, v5, v10, vcc
	global_load_dwordx2 v[9:10], v[9:10], off
	v_cmp_eq_u32_e32 vcc, s24, v3
	v_add_u32_e32 v1, s28, v1
	s_or_b64 s[20:21], vcc, s[20:21]
	s_waitcnt vmcnt(0)
	ds_write_b64 v7, v[9:10]
	v_add_u32_e32 v7, s22, v7
	s_andn2_b64 exec, exec, s[20:21]
	s_cbranch_execnz .LBB27_3
; %bb.4:                                ;   in Loop: Header=BB27_2 Depth=1
	s_or_b64 exec, exec, s[20:21]
	v_add_u32_e32 v6, s11, v6
	v_cmp_le_i32_e32 vcc, s10, v6
	v_add_u32_e32 v3, s11, v3
	s_or_b64 s[18:19], vcc, s[18:19]
	v_add_u32_e32 v4, s23, v4
	s_andn2_b64 exec, exec, s[18:19]
	s_cbranch_execnz .LBB27_2
.LBB27_5:
	s_or_b64 exec, exec, s[16:17]
	s_cmp_lt_i32 s10, 2
	s_waitcnt lgkmcnt(0)
	s_barrier
	s_cbranch_scc1 .LBB27_30
; %bb.6:
	s_load_dwordx2 s[4:5], s[4:5], 0x18
	s_mul_i32 s7, s14, s7
	s_mul_hi_u32 s16, s14, s6
	s_add_i32 s7, s16, s7
	v_lshlrev_b32_e32 v3, 3, v0
	s_waitcnt lgkmcnt(0)
	s_ashr_i32 s17, s4, 31
	s_mov_b32 s16, s4
	s_mul_i32 s4, s15, s6
	s_add_i32 s7, s7, s4
	s_mul_i32 s6, s14, s6
	s_lshl_b64 s[6:7], s[6:7], 3
	s_add_u32 s4, s12, s6
	s_addc_u32 s31, s13, s7
	s_lshl_b32 s33, s10, 3
	s_add_i32 s34, s33, 0
	s_add_i32 s6, s10, -2
	s_sub_i32 s35, s9, s10
	s_mov_b32 s7, 0
	s_cmpk_lg_i32 s8, 0xb5
	s_cselect_b64 s[12:13], -1, 0
	s_add_i32 s36, s9, -2
	s_lshl_b64 s[14:15], s[16:17], 3
	s_lshl_b64 s[16:17], s[6:7], 3
	s_add_u32 s8, s14, s16
	s_addc_u32 s9, s15, s17
	s_add_u32 s37, s2, s8
	s_addc_u32 s38, s3, s9
	s_ashr_i32 s9, s5, 31
	s_mov_b32 s8, s5
	s_lshl_b64 s[8:9], s[8:9], 3
	s_add_u32 s16, s2, s16
	s_addc_u32 s17, s3, s17
	s_add_u32 s16, s16, s14
	s_addc_u32 s17, s17, s15
	s_lshl_b32 s39, s11, 3
	s_add_u32 s40, s2, s14
	s_addc_u32 s41, s3, s15
	s_add_i32 s2, s10, -1
	v_mov_b32_e32 v1, s17
	v_add_co_u32_e32 v2, vcc, s16, v3
	s_mul_i32 s14, s5, s2
	v_mul_lo_u32 v9, v0, s5
	s_add_i32 s2, s33, 8
	v_addc_co_u32_e32 v4, vcc, 0, v1, vcc
	s_mul_i32 s2, s10, s2
	v_add_co_u32_e32 v1, vcc, 8, v2
	s_add_i32 s2, s2, 0
	v_addc_co_u32_e32 v2, vcc, 0, v4, vcc
	s_mul_i32 s42, s5, s11
	s_mul_i32 s16, s5, s6
	v_add3_u32 v10, s2, v3, -8
	s_xor_b32 s43, s33, -8
	s_branch .LBB27_8
.LBB27_7:                               ;   in Loop: Header=BB27_8 Depth=1
	s_or_b64 exec, exec, s[2:3]
	s_add_i32 s2, s6, -1
	s_add_i32 s36, s36, -1
	s_add_u32 s37, s37, -8
	s_addc_u32 s38, s38, -1
	v_add_co_u32_e32 v1, vcc, -8, v1
	s_sub_i32 s14, s14, s5
	s_sub_i32 s16, s16, s5
	v_addc_co_u32_e32 v2, vcc, -1, v2, vcc
	v_add_u32_e32 v10, s43, v10
	s_cmp_lt_i32 s6, 1
	s_mov_b32 s6, s2
	s_waitcnt lgkmcnt(0)
	s_barrier
	s_cbranch_scc1 .LBB27_30
.LBB27_8:                               ; =>This Loop Header: Depth=1
                                        ;     Child Loop BB27_12 Depth 2
                                        ;       Child Loop BB27_14 Depth 3
                                        ;     Child Loop BB27_21 Depth 2
                                        ;       Child Loop BB27_23 Depth 3
	;; [unrolled: 2-line block ×3, first 2 shown]
	s_not_b32 s2, s6
	s_add_i32 s44, s10, s2
	s_lshl_b32 s2, s6, 3
	s_add_i32 s45, s34, s2
	s_mul_i32 s2, s6, s10
	s_lshl_b32 s2, s2, 3
	s_add_i32 s26, s6, s35
	s_add_i32 s45, s45, s2
	s_mov_b64 s[18:19], -1
	s_and_b64 vcc, exec, s[12:13]
	v_cmp_gt_i32_e64 s[2:3], s44, v0
	s_cbranch_vccz .LBB27_16
; %bb.9:                                ;   in Loop: Header=BB27_8 Depth=1
	s_and_saveexec_b64 s[18:19], s[2:3]
	s_cbranch_execz .LBB27_15
; %bb.10:                               ;   in Loop: Header=BB27_8 Depth=1
	s_cmp_gt_i32 s26, 0
	s_cselect_b64 s[2:3], -1, 0
	s_lshl_b64 s[20:21], s[6:7], 3
	s_add_u32 s20, s4, s20
	s_addc_u32 s21, s31, s21
	s_load_dwordx2 s[20:21], s[20:21], 0x0
	v_cndmask_b32_e64 v3, 0, 1, s[2:3]
	v_cmp_ne_u32_e64 s[2:3], 1, v3
	v_mov_b32_e32 v4, v2
	s_mov_b64 s[22:23], 0
	v_mov_b32_e32 v3, v1
	v_mov_b32_e32 v7, v0
	s_branch .LBB27_12
.LBB27_11:                              ;   in Loop: Header=BB27_12 Depth=2
	v_lshlrev_b32_e32 v13, 3, v7
	v_add_u32_e32 v11, s45, v13
	ds_read_b64 v[11:12], v11 offset:8
	v_add_u32_e32 v7, s11, v7
	v_cmp_le_i32_e32 vcc, s44, v7
	s_or_b64 s[22:23], vcc, s[22:23]
	v_add_co_u32_e32 v3, vcc, s39, v3
	s_waitcnt lgkmcnt(0)
	v_fma_f64 v[5:6], v[5:6], s[20:21], v[11:12]
	v_add_u32_e32 v11, 0, v13
	v_addc_co_u32_e32 v4, vcc, 0, v4, vcc
	ds_write_b64 v11, v[5:6]
	s_andn2_b64 exec, exec, s[22:23]
	s_cbranch_execz .LBB27_15
.LBB27_12:                              ;   Parent Loop BB27_8 Depth=1
                                        ; =>  This Loop Header: Depth=2
                                        ;       Child Loop BB27_14 Depth 3
	v_mov_b32_e32 v5, 0
	v_mov_b32_e32 v6, 0
	s_and_b64 vcc, exec, s[2:3]
	s_cbranch_vccnz .LBB27_11
; %bb.13:                               ;   in Loop: Header=BB27_12 Depth=2
	s_mov_b32 s15, 0
	s_mov_b64 s[24:25], 0
.LBB27_14:                              ;   Parent Loop BB27_8 Depth=1
                                        ;     Parent Loop BB27_12 Depth=2
                                        ; =>    This Inner Loop Header: Depth=3
	s_add_u32 s46, s37, s24
	v_mov_b32_e32 v12, s25
	v_add_co_u32_e32 v11, vcc, s24, v3
	s_addc_u32 s47, s38, s25
	v_mov_b32_e32 v13, s46
	v_addc_co_u32_e32 v12, vcc, v4, v12, vcc
	v_mov_b32_e32 v14, s47
	flat_load_dwordx2 v[11:12], v[11:12]
	s_add_i32 s15, s15, 1
	flat_load_dwordx2 v[13:14], v[13:14]
	s_add_u32 s24, s24, s8
	s_addc_u32 s25, s25, s9
	s_cmp_eq_u32 s36, s15
	s_waitcnt vmcnt(0) lgkmcnt(0)
	v_fma_f64 v[5:6], v[11:12], v[13:14], v[5:6]
	s_cbranch_scc0 .LBB27_14
	s_branch .LBB27_11
.LBB27_15:                              ;   in Loop: Header=BB27_8 Depth=1
	s_or_b64 exec, exec, s[18:19]
	s_mov_b64 s[18:19], 0
.LBB27_16:                              ;   in Loop: Header=BB27_8 Depth=1
	s_andn2_b64 vcc, exec, s[18:19]
	s_cbranch_vccnz .LBB27_25
; %bb.17:                               ;   in Loop: Header=BB27_8 Depth=1
	v_cmp_gt_i32_e32 vcc, s44, v0
	s_and_saveexec_b64 s[2:3], vcc
	s_cbranch_execz .LBB27_24
; %bb.18:                               ;   in Loop: Header=BB27_8 Depth=1
	s_ashr_i32 s15, s14, 31
	s_ashr_i32 s17, s16, 31
	s_lshl_b64 s[24:25], s[14:15], 3
	s_lshl_b64 s[18:19], s[16:17], 3
	s_add_u32 s18, s40, s18
	s_addc_u32 s19, s41, s19
	s_cmp_gt_i32 s26, 0
	s_cselect_b64 s[20:21], -1, 0
	s_lshl_b64 s[22:23], s[6:7], 3
	s_add_u32 s22, s4, s22
	s_addc_u32 s23, s31, s23
	s_load_dwordx2 s[22:23], s[22:23], 0x0
	s_add_u32 s15, s40, s24
	s_addc_u32 s17, s41, s25
	s_mov_b64 s[24:25], 0
	v_mov_b32_e32 v3, v9
	v_mov_b32_e32 v11, v0
	s_branch .LBB27_21
.LBB27_19:                              ;   in Loop: Header=BB27_21 Depth=2
	v_mov_b32_e32 v4, 0
	v_mov_b32_e32 v5, 0
.LBB27_20:                              ;   in Loop: Header=BB27_21 Depth=2
	v_lshlrev_b32_e32 v12, 3, v11
	v_add_u32_e32 v6, s45, v12
	ds_read_b64 v[6:7], v6 offset:8
	v_add_u32_e32 v11, s11, v11
	v_cmp_le_i32_e32 vcc, s44, v11
	s_or_b64 s[24:25], vcc, s[24:25]
	v_add_u32_e32 v3, s42, v3
	s_waitcnt lgkmcnt(0)
	v_fma_f64 v[4:5], v[4:5], s[22:23], v[6:7]
	v_add_u32_e32 v6, 0, v12
	ds_write_b64 v6, v[4:5]
	s_andn2_b64 exec, exec, s[24:25]
	s_cbranch_execz .LBB27_24
.LBB27_21:                              ;   Parent Loop BB27_8 Depth=1
                                        ; =>  This Loop Header: Depth=2
                                        ;       Child Loop BB27_23 Depth 3
	s_andn2_b64 vcc, exec, s[20:21]
	s_cbranch_vccnz .LBB27_19
; %bb.22:                               ;   in Loop: Header=BB27_21 Depth=2
	v_ashrrev_i32_e32 v4, 31, v3
	v_lshlrev_b64 v[4:5], 3, v[3:4]
	v_mov_b32_e32 v7, s17
	v_add_co_u32_e32 v6, vcc, s15, v4
	v_addc_co_u32_e32 v7, vcc, v7, v5, vcc
	v_mov_b32_e32 v4, 0
	v_mov_b32_e32 v5, 0
	s_mov_b32 s46, 0
	s_mov_b64 s[26:27], s[18:19]
.LBB27_23:                              ;   Parent Loop BB27_8 Depth=1
                                        ;     Parent Loop BB27_21 Depth=2
                                        ; =>    This Inner Loop Header: Depth=3
	v_mov_b32_e32 v14, s26
	v_mov_b32_e32 v15, s27
	flat_load_dwordx2 v[12:13], v[6:7]
	s_add_i32 s46, s46, 1
	flat_load_dwordx2 v[14:15], v[14:15]
	s_add_u32 s26, s26, 8
	v_add_co_u32_e32 v6, vcc, 8, v6
	s_addc_u32 s27, s27, 0
	s_cmp_eq_u32 s36, s46
	v_addc_co_u32_e32 v7, vcc, 0, v7, vcc
	s_waitcnt vmcnt(0) lgkmcnt(0)
	v_fma_f64 v[4:5], v[12:13], v[14:15], v[4:5]
	s_cbranch_scc0 .LBB27_23
	s_branch .LBB27_20
.LBB27_24:                              ;   in Loop: Header=BB27_8 Depth=1
	s_or_b64 exec, exec, s[2:3]
.LBB27_25:                              ;   in Loop: Header=BB27_8 Depth=1
	v_cmp_gt_i32_e32 vcc, s44, v0
	s_waitcnt lgkmcnt(0)
	s_barrier
	s_and_saveexec_b64 s[2:3], vcc
	s_cbranch_execz .LBB27_7
; %bb.26:                               ;   in Loop: Header=BB27_8 Depth=1
	s_mov_b64 s[18:19], 0
	v_mov_b32_e32 v5, v10
	v_mov_b32_e32 v6, v0
.LBB27_27:                              ;   Parent Loop BB27_8 Depth=1
                                        ; =>  This Loop Header: Depth=2
                                        ;       Child Loop BB27_28 Depth 3
	v_mov_b32_e32 v3, 0
	v_mov_b32_e32 v4, 0
	s_mov_b32 s15, -1
	s_mov_b32 s17, 0
	s_mov_b64 s[20:21], 0
	v_mov_b32_e32 v7, v5
.LBB27_28:                              ;   Parent Loop BB27_8 Depth=1
                                        ;     Parent Loop BB27_27 Depth=2
                                        ; =>    This Inner Loop Header: Depth=3
	v_mov_b32_e32 v13, s17
	ds_read_b64 v[11:12], v7
	ds_read_b64 v[13:14], v13
	s_add_i32 s15, s15, 1
	s_add_i32 s17, s17, 8
	v_cmp_eq_u32_e32 vcc, s15, v6
	s_or_b64 s[20:21], vcc, s[20:21]
	s_waitcnt lgkmcnt(0)
	v_fma_f64 v[3:4], v[11:12], v[13:14], v[3:4]
	v_add_u32_e32 v7, s33, v7
	s_andn2_b64 exec, exec, s[20:21]
	s_cbranch_execnz .LBB27_28
; %bb.29:                               ;   in Loop: Header=BB27_27 Depth=2
	s_or_b64 exec, exec, s[20:21]
	v_lshl_add_u32 v7, v6, 3, s45
	v_add_u32_e32 v6, s11, v6
	v_cmp_le_i32_e32 vcc, s44, v6
	s_or_b64 s[18:19], vcc, s[18:19]
	v_add_u32_e32 v5, s39, v5
	ds_write_b64 v7, v[3:4] offset:8
	s_andn2_b64 exec, exec, s[18:19]
	s_cbranch_execnz .LBB27_27
	s_branch .LBB27_7
.LBB27_30:
	s_and_saveexec_b64 s[2:3], s[0:1]
	s_cbranch_execz .LBB27_35
; %bb.31:
	s_lshl_b32 s4, s10, 3
	s_add_i32 s0, s4, 0
	v_lshl_add_u32 v3, v0, 3, s0
	s_lshl_b32 s5, s11, 3
	s_mov_b64 s[0:1], 0
	v_mov_b32_e32 v4, s30
.LBB27_32:                              ; =>This Loop Header: Depth=1
                                        ;     Child Loop BB27_33 Depth 2
	s_mov_b64 s[2:3], 0
	v_mov_b32_e32 v5, v3
	v_mov_b32_e32 v1, v0
	s_mov_b32 s6, 0
.LBB27_33:                              ;   Parent Loop BB27_32 Depth=1
                                        ; =>  This Inner Loop Header: Depth=2
	ds_read_b64 v[6:7], v5
	v_ashrrev_i32_e32 v2, 31, v1
	s_add_i32 s6, s6, 1
	v_lshlrev_b64 v[9:10], 3, v[1:2]
	v_cmp_eq_u32_e32 vcc, s6, v8
	s_or_b64 s[2:3], vcc, s[2:3]
	v_add_co_u32_e32 v9, vcc, s29, v9
	v_add_u32_e32 v5, s4, v5
	v_add_u32_e32 v1, s28, v1
	v_addc_co_u32_e32 v10, vcc, v4, v10, vcc
	s_waitcnt lgkmcnt(0)
	global_store_dwordx2 v[9:10], v[6:7], off
	s_andn2_b64 exec, exec, s[2:3]
	s_cbranch_execnz .LBB27_33
; %bb.34:                               ;   in Loop: Header=BB27_32 Depth=1
	s_or_b64 exec, exec, s[2:3]
	v_add_u32_e32 v0, s11, v0
	v_cmp_le_i32_e32 vcc, s10, v0
	v_add_u32_e32 v8, s11, v8
	s_or_b64 s[0:1], vcc, s[0:1]
	v_add_u32_e32 v3, s5, v3
	s_andn2_b64 exec, exec, s[0:1]
	s_cbranch_execnz .LBB27_32
.LBB27_35:
	s_endpgm
	.section	.rodata,"a",@progbits
	.p2align	6, 0x0
	.amdhsa_kernel _ZN9rocsolver6v33100L21larft_kernel_backwardIdPKPdEEv15rocblas_storev_iiT0_iilPT_lS8_il
		.amdhsa_group_segment_fixed_size 0
		.amdhsa_private_segment_fixed_size 0
		.amdhsa_kernarg_size 336
		.amdhsa_user_sgpr_count 6
		.amdhsa_user_sgpr_private_segment_buffer 1
		.amdhsa_user_sgpr_dispatch_ptr 0
		.amdhsa_user_sgpr_queue_ptr 0
		.amdhsa_user_sgpr_kernarg_segment_ptr 1
		.amdhsa_user_sgpr_dispatch_id 0
		.amdhsa_user_sgpr_flat_scratch_init 0
		.amdhsa_user_sgpr_private_segment_size 0
		.amdhsa_uses_dynamic_stack 0
		.amdhsa_system_sgpr_private_segment_wavefront_offset 0
		.amdhsa_system_sgpr_workgroup_id_x 1
		.amdhsa_system_sgpr_workgroup_id_y 1
		.amdhsa_system_sgpr_workgroup_id_z 0
		.amdhsa_system_sgpr_workgroup_info 0
		.amdhsa_system_vgpr_workitem_id 0
		.amdhsa_next_free_vgpr 16
		.amdhsa_next_free_sgpr 48
		.amdhsa_reserve_vcc 1
		.amdhsa_reserve_flat_scratch 0
		.amdhsa_float_round_mode_32 0
		.amdhsa_float_round_mode_16_64 0
		.amdhsa_float_denorm_mode_32 3
		.amdhsa_float_denorm_mode_16_64 3
		.amdhsa_dx10_clamp 1
		.amdhsa_ieee_mode 1
		.amdhsa_fp16_overflow 0
		.amdhsa_exception_fp_ieee_invalid_op 0
		.amdhsa_exception_fp_denorm_src 0
		.amdhsa_exception_fp_ieee_div_zero 0
		.amdhsa_exception_fp_ieee_overflow 0
		.amdhsa_exception_fp_ieee_underflow 0
		.amdhsa_exception_fp_ieee_inexact 0
		.amdhsa_exception_int_div_zero 0
	.end_amdhsa_kernel
	.section	.text._ZN9rocsolver6v33100L21larft_kernel_backwardIdPKPdEEv15rocblas_storev_iiT0_iilPT_lS8_il,"axG",@progbits,_ZN9rocsolver6v33100L21larft_kernel_backwardIdPKPdEEv15rocblas_storev_iiT0_iilPT_lS8_il,comdat
.Lfunc_end27:
	.size	_ZN9rocsolver6v33100L21larft_kernel_backwardIdPKPdEEv15rocblas_storev_iiT0_iilPT_lS8_il, .Lfunc_end27-_ZN9rocsolver6v33100L21larft_kernel_backwardIdPKPdEEv15rocblas_storev_iiT0_iilPT_lS8_il
                                        ; -- End function
	.set _ZN9rocsolver6v33100L21larft_kernel_backwardIdPKPdEEv15rocblas_storev_iiT0_iilPT_lS8_il.num_vgpr, 16
	.set _ZN9rocsolver6v33100L21larft_kernel_backwardIdPKPdEEv15rocblas_storev_iiT0_iilPT_lS8_il.num_agpr, 0
	.set _ZN9rocsolver6v33100L21larft_kernel_backwardIdPKPdEEv15rocblas_storev_iiT0_iilPT_lS8_il.numbered_sgpr, 48
	.set _ZN9rocsolver6v33100L21larft_kernel_backwardIdPKPdEEv15rocblas_storev_iiT0_iilPT_lS8_il.num_named_barrier, 0
	.set _ZN9rocsolver6v33100L21larft_kernel_backwardIdPKPdEEv15rocblas_storev_iiT0_iilPT_lS8_il.private_seg_size, 0
	.set _ZN9rocsolver6v33100L21larft_kernel_backwardIdPKPdEEv15rocblas_storev_iiT0_iilPT_lS8_il.uses_vcc, 1
	.set _ZN9rocsolver6v33100L21larft_kernel_backwardIdPKPdEEv15rocblas_storev_iiT0_iilPT_lS8_il.uses_flat_scratch, 0
	.set _ZN9rocsolver6v33100L21larft_kernel_backwardIdPKPdEEv15rocblas_storev_iiT0_iilPT_lS8_il.has_dyn_sized_stack, 0
	.set _ZN9rocsolver6v33100L21larft_kernel_backwardIdPKPdEEv15rocblas_storev_iiT0_iilPT_lS8_il.has_recursion, 0
	.set _ZN9rocsolver6v33100L21larft_kernel_backwardIdPKPdEEv15rocblas_storev_iiT0_iilPT_lS8_il.has_indirect_call, 0
	.section	.AMDGPU.csdata,"",@progbits
; Kernel info:
; codeLenInByte = 1524
; TotalNumSgprs: 52
; NumVgprs: 16
; ScratchSize: 0
; MemoryBound: 0
; FloatMode: 240
; IeeeMode: 1
; LDSByteSize: 0 bytes/workgroup (compile time only)
; SGPRBlocks: 6
; VGPRBlocks: 3
; NumSGPRsForWavesPerEU: 52
; NumVGPRsForWavesPerEU: 16
; Occupancy: 10
; WaveLimiterHint : 0
; COMPUTE_PGM_RSRC2:SCRATCH_EN: 0
; COMPUTE_PGM_RSRC2:USER_SGPR: 6
; COMPUTE_PGM_RSRC2:TRAP_HANDLER: 0
; COMPUTE_PGM_RSRC2:TGID_X_EN: 1
; COMPUTE_PGM_RSRC2:TGID_Y_EN: 1
; COMPUTE_PGM_RSRC2:TGID_Z_EN: 0
; COMPUTE_PGM_RSRC2:TIDIG_COMP_CNT: 0
	.section	.text._ZN9rocsolver6v33100L9copymatA1IdPKPdEEviiT0_iilPT_,"axG",@progbits,_ZN9rocsolver6v33100L9copymatA1IdPKPdEEviiT0_iilPT_,comdat
	.globl	_ZN9rocsolver6v33100L9copymatA1IdPKPdEEviiT0_iilPT_ ; -- Begin function _ZN9rocsolver6v33100L9copymatA1IdPKPdEEviiT0_iilPT_
	.p2align	8
	.type	_ZN9rocsolver6v33100L9copymatA1IdPKPdEEviiT0_iilPT_,@function
_ZN9rocsolver6v33100L9copymatA1IdPKPdEEviiT0_iilPT_: ; @_ZN9rocsolver6v33100L9copymatA1IdPKPdEEviiT0_iilPT_
; %bb.0:
	s_load_dword s0, s[4:5], 0x34
	s_load_dwordx2 s[2:3], s[4:5], 0x0
	s_waitcnt lgkmcnt(0)
	s_lshr_b32 s1, s0, 16
	s_and_b32 s0, s0, 0xffff
	s_mul_i32 s6, s6, s0
	s_mul_i32 s7, s7, s1
	v_add_u32_e32 v2, s6, v0
	v_add_u32_e32 v0, s7, v1
	v_cmp_gt_u32_e32 vcc, s2, v0
	v_cmp_gt_u32_e64 s[0:1], s3, v2
	s_and_b64 s[0:1], s[0:1], vcc
	s_and_saveexec_b64 s[6:7], s[0:1]
	s_cbranch_execz .LBB28_2
; %bb.1:
	s_load_dwordx4 s[12:15], s[4:5], 0x8
	s_load_dwordx2 s[0:1], s[4:5], 0x20
	s_ashr_i32 s4, s2, 31
	s_mul_hi_u32 s6, s2, s8
	s_mul_i32 s4, s4, s8
	s_ashr_i32 s5, s3, 31
	s_add_i32 s4, s6, s4
	s_mul_i32 s6, s2, s8
	s_mul_i32 s5, s6, s5
	s_mul_hi_u32 s7, s6, s3
	s_add_i32 s5, s7, s5
	s_mul_i32 s4, s4, s3
	s_add_i32 s5, s5, s4
	s_mul_i32 s4, s6, s3
	s_lshl_b64 s[4:5], s[4:5], 3
	s_mov_b32 s9, 0
	s_waitcnt lgkmcnt(0)
	s_add_u32 s3, s0, s4
	s_addc_u32 s10, s1, s5
	s_ashr_i32 s1, s14, 31
	s_lshl_b64 s[4:5], s[8:9], 3
	s_add_u32 s4, s12, s4
	s_addc_u32 s5, s13, s5
	s_load_dwordx2 s[4:5], s[4:5], 0x0
	v_mad_u64_u32 v[3:4], s[6:7], v2, s15, v[0:1]
	s_mov_b32 s0, s14
	s_lshl_b64 s[0:1], s[0:1], 3
	v_mov_b32_e32 v4, 0
	s_waitcnt lgkmcnt(0)
	s_add_u32 s0, s4, s0
	v_lshlrev_b64 v[5:6], 3, v[3:4]
	s_addc_u32 s1, s5, s1
	v_mov_b32_e32 v1, s1
	v_add_co_u32_e32 v5, vcc, s0, v5
	v_addc_co_u32_e32 v6, vcc, v1, v6, vcc
	flat_load_dwordx2 v[5:6], v[5:6]
	v_mad_u64_u32 v[0:1], s[0:1], v2, s2, v[0:1]
	v_mov_b32_e32 v1, v4
	v_mov_b32_e32 v2, s10
	v_lshlrev_b64 v[0:1], 3, v[0:1]
	v_add_co_u32_e32 v0, vcc, s3, v0
	v_addc_co_u32_e32 v1, vcc, v2, v1, vcc
	s_waitcnt vmcnt(0) lgkmcnt(0)
	global_store_dwordx2 v[0:1], v[5:6], off
.LBB28_2:
	s_endpgm
	.section	.rodata,"a",@progbits
	.p2align	6, 0x0
	.amdhsa_kernel _ZN9rocsolver6v33100L9copymatA1IdPKPdEEviiT0_iilPT_
		.amdhsa_group_segment_fixed_size 0
		.amdhsa_private_segment_fixed_size 0
		.amdhsa_kernarg_size 296
		.amdhsa_user_sgpr_count 6
		.amdhsa_user_sgpr_private_segment_buffer 1
		.amdhsa_user_sgpr_dispatch_ptr 0
		.amdhsa_user_sgpr_queue_ptr 0
		.amdhsa_user_sgpr_kernarg_segment_ptr 1
		.amdhsa_user_sgpr_dispatch_id 0
		.amdhsa_user_sgpr_flat_scratch_init 0
		.amdhsa_user_sgpr_private_segment_size 0
		.amdhsa_uses_dynamic_stack 0
		.amdhsa_system_sgpr_private_segment_wavefront_offset 0
		.amdhsa_system_sgpr_workgroup_id_x 1
		.amdhsa_system_sgpr_workgroup_id_y 1
		.amdhsa_system_sgpr_workgroup_id_z 1
		.amdhsa_system_sgpr_workgroup_info 0
		.amdhsa_system_vgpr_workitem_id 1
		.amdhsa_next_free_vgpr 7
		.amdhsa_next_free_sgpr 16
		.amdhsa_reserve_vcc 1
		.amdhsa_reserve_flat_scratch 0
		.amdhsa_float_round_mode_32 0
		.amdhsa_float_round_mode_16_64 0
		.amdhsa_float_denorm_mode_32 3
		.amdhsa_float_denorm_mode_16_64 3
		.amdhsa_dx10_clamp 1
		.amdhsa_ieee_mode 1
		.amdhsa_fp16_overflow 0
		.amdhsa_exception_fp_ieee_invalid_op 0
		.amdhsa_exception_fp_denorm_src 0
		.amdhsa_exception_fp_ieee_div_zero 0
		.amdhsa_exception_fp_ieee_overflow 0
		.amdhsa_exception_fp_ieee_underflow 0
		.amdhsa_exception_fp_ieee_inexact 0
		.amdhsa_exception_int_div_zero 0
	.end_amdhsa_kernel
	.section	.text._ZN9rocsolver6v33100L9copymatA1IdPKPdEEviiT0_iilPT_,"axG",@progbits,_ZN9rocsolver6v33100L9copymatA1IdPKPdEEviiT0_iilPT_,comdat
.Lfunc_end28:
	.size	_ZN9rocsolver6v33100L9copymatA1IdPKPdEEviiT0_iilPT_, .Lfunc_end28-_ZN9rocsolver6v33100L9copymatA1IdPKPdEEviiT0_iilPT_
                                        ; -- End function
	.set _ZN9rocsolver6v33100L9copymatA1IdPKPdEEviiT0_iilPT_.num_vgpr, 7
	.set _ZN9rocsolver6v33100L9copymatA1IdPKPdEEviiT0_iilPT_.num_agpr, 0
	.set _ZN9rocsolver6v33100L9copymatA1IdPKPdEEviiT0_iilPT_.numbered_sgpr, 16
	.set _ZN9rocsolver6v33100L9copymatA1IdPKPdEEviiT0_iilPT_.num_named_barrier, 0
	.set _ZN9rocsolver6v33100L9copymatA1IdPKPdEEviiT0_iilPT_.private_seg_size, 0
	.set _ZN9rocsolver6v33100L9copymatA1IdPKPdEEviiT0_iilPT_.uses_vcc, 1
	.set _ZN9rocsolver6v33100L9copymatA1IdPKPdEEviiT0_iilPT_.uses_flat_scratch, 0
	.set _ZN9rocsolver6v33100L9copymatA1IdPKPdEEviiT0_iilPT_.has_dyn_sized_stack, 0
	.set _ZN9rocsolver6v33100L9copymatA1IdPKPdEEviiT0_iilPT_.has_recursion, 0
	.set _ZN9rocsolver6v33100L9copymatA1IdPKPdEEviiT0_iilPT_.has_indirect_call, 0
	.section	.AMDGPU.csdata,"",@progbits
; Kernel info:
; codeLenInByte = 288
; TotalNumSgprs: 20
; NumVgprs: 7
; ScratchSize: 0
; MemoryBound: 0
; FloatMode: 240
; IeeeMode: 1
; LDSByteSize: 0 bytes/workgroup (compile time only)
; SGPRBlocks: 2
; VGPRBlocks: 1
; NumSGPRsForWavesPerEU: 20
; NumVGPRsForWavesPerEU: 7
; Occupancy: 10
; WaveLimiterHint : 1
; COMPUTE_PGM_RSRC2:SCRATCH_EN: 0
; COMPUTE_PGM_RSRC2:USER_SGPR: 6
; COMPUTE_PGM_RSRC2:TRAP_HANDLER: 0
; COMPUTE_PGM_RSRC2:TGID_X_EN: 1
; COMPUTE_PGM_RSRC2:TGID_Y_EN: 1
; COMPUTE_PGM_RSRC2:TGID_Z_EN: 1
; COMPUTE_PGM_RSRC2:TIDIG_COMP_CNT: 1
	.section	.text._ZN9rocsolver6v33100L8addmatA1IdPKPdEEviiT0_iilPT_,"axG",@progbits,_ZN9rocsolver6v33100L8addmatA1IdPKPdEEviiT0_iilPT_,comdat
	.globl	_ZN9rocsolver6v33100L8addmatA1IdPKPdEEviiT0_iilPT_ ; -- Begin function _ZN9rocsolver6v33100L8addmatA1IdPKPdEEviiT0_iilPT_
	.p2align	8
	.type	_ZN9rocsolver6v33100L8addmatA1IdPKPdEEviiT0_iilPT_,@function
_ZN9rocsolver6v33100L8addmatA1IdPKPdEEviiT0_iilPT_: ; @_ZN9rocsolver6v33100L8addmatA1IdPKPdEEviiT0_iilPT_
; %bb.0:
	s_load_dword s0, s[4:5], 0x34
	s_load_dwordx2 s[10:11], s[4:5], 0x0
	s_waitcnt lgkmcnt(0)
	s_lshr_b32 s1, s0, 16
	s_and_b32 s0, s0, 0xffff
	s_mul_i32 s6, s6, s0
	s_mul_i32 s7, s7, s1
	v_add_u32_e32 v2, s6, v0
	v_add_u32_e32 v0, s7, v1
	v_cmp_gt_u32_e32 vcc, s10, v0
	v_cmp_gt_u32_e64 s[0:1], s11, v2
	s_and_b64 s[0:1], s[0:1], vcc
	s_and_saveexec_b64 s[2:3], s[0:1]
	s_cbranch_execz .LBB29_2
; %bb.1:
	s_load_dwordx4 s[0:3], s[4:5], 0x8
	s_load_dwordx2 s[6:7], s[4:5], 0x20
	s_ashr_i32 s4, s10, 31
	s_mul_hi_u32 s12, s10, s8
	s_mul_i32 s4, s4, s8
	s_ashr_i32 s5, s11, 31
	s_add_i32 s4, s12, s4
	s_mul_i32 s12, s10, s8
	s_mul_i32 s5, s12, s5
	s_mul_hi_u32 s13, s12, s11
	s_add_i32 s5, s13, s5
	s_mul_i32 s4, s4, s11
	s_add_i32 s5, s5, s4
	s_mul_i32 s4, s12, s11
	s_lshl_b64 s[4:5], s[4:5], 3
	s_mov_b32 s9, 0
	s_waitcnt lgkmcnt(0)
	s_add_u32 s11, s6, s4
	s_addc_u32 s12, s7, s5
	s_ashr_i32 s5, s2, 31
	s_lshl_b64 s[6:7], s[8:9], 3
	s_add_u32 s0, s0, s6
	s_addc_u32 s1, s1, s7
	s_load_dwordx2 s[0:1], s[0:1], 0x0
	v_mad_u64_u32 v[3:4], s[6:7], v2, s10, v[0:1]
	s_mov_b32 s4, s2
	s_lshl_b64 s[4:5], s[4:5], 3
	v_mov_b32_e32 v4, 0
	s_waitcnt lgkmcnt(0)
	s_add_u32 s2, s0, s4
	v_lshlrev_b64 v[5:6], 3, v[3:4]
	s_addc_u32 s4, s1, s5
	v_mad_u64_u32 v[0:1], s[0:1], v2, s3, v[0:1]
	v_mov_b32_e32 v3, s12
	v_add_co_u32_e32 v1, vcc, s11, v5
	v_addc_co_u32_e32 v2, vcc, v3, v6, vcc
	global_load_dwordx2 v[2:3], v[1:2], off
	v_mov_b32_e32 v1, v4
	v_lshlrev_b64 v[0:1], 3, v[0:1]
	v_mov_b32_e32 v4, s4
	v_add_co_u32_e32 v0, vcc, s2, v0
	v_addc_co_u32_e32 v1, vcc, v4, v1, vcc
	flat_load_dwordx2 v[4:5], v[0:1]
	s_waitcnt vmcnt(0) lgkmcnt(0)
	v_add_f64 v[2:3], v[4:5], -v[2:3]
	flat_store_dwordx2 v[0:1], v[2:3]
.LBB29_2:
	s_endpgm
	.section	.rodata,"a",@progbits
	.p2align	6, 0x0
	.amdhsa_kernel _ZN9rocsolver6v33100L8addmatA1IdPKPdEEviiT0_iilPT_
		.amdhsa_group_segment_fixed_size 0
		.amdhsa_private_segment_fixed_size 0
		.amdhsa_kernarg_size 296
		.amdhsa_user_sgpr_count 6
		.amdhsa_user_sgpr_private_segment_buffer 1
		.amdhsa_user_sgpr_dispatch_ptr 0
		.amdhsa_user_sgpr_queue_ptr 0
		.amdhsa_user_sgpr_kernarg_segment_ptr 1
		.amdhsa_user_sgpr_dispatch_id 0
		.amdhsa_user_sgpr_flat_scratch_init 0
		.amdhsa_user_sgpr_private_segment_size 0
		.amdhsa_uses_dynamic_stack 0
		.amdhsa_system_sgpr_private_segment_wavefront_offset 0
		.amdhsa_system_sgpr_workgroup_id_x 1
		.amdhsa_system_sgpr_workgroup_id_y 1
		.amdhsa_system_sgpr_workgroup_id_z 1
		.amdhsa_system_sgpr_workgroup_info 0
		.amdhsa_system_vgpr_workitem_id 1
		.amdhsa_next_free_vgpr 7
		.amdhsa_next_free_sgpr 14
		.amdhsa_reserve_vcc 1
		.amdhsa_reserve_flat_scratch 0
		.amdhsa_float_round_mode_32 0
		.amdhsa_float_round_mode_16_64 0
		.amdhsa_float_denorm_mode_32 3
		.amdhsa_float_denorm_mode_16_64 3
		.amdhsa_dx10_clamp 1
		.amdhsa_ieee_mode 1
		.amdhsa_fp16_overflow 0
		.amdhsa_exception_fp_ieee_invalid_op 0
		.amdhsa_exception_fp_denorm_src 0
		.amdhsa_exception_fp_ieee_div_zero 0
		.amdhsa_exception_fp_ieee_overflow 0
		.amdhsa_exception_fp_ieee_underflow 0
		.amdhsa_exception_fp_ieee_inexact 0
		.amdhsa_exception_int_div_zero 0
	.end_amdhsa_kernel
	.section	.text._ZN9rocsolver6v33100L8addmatA1IdPKPdEEviiT0_iilPT_,"axG",@progbits,_ZN9rocsolver6v33100L8addmatA1IdPKPdEEviiT0_iilPT_,comdat
.Lfunc_end29:
	.size	_ZN9rocsolver6v33100L8addmatA1IdPKPdEEviiT0_iilPT_, .Lfunc_end29-_ZN9rocsolver6v33100L8addmatA1IdPKPdEEviiT0_iilPT_
                                        ; -- End function
	.set _ZN9rocsolver6v33100L8addmatA1IdPKPdEEviiT0_iilPT_.num_vgpr, 7
	.set _ZN9rocsolver6v33100L8addmatA1IdPKPdEEviiT0_iilPT_.num_agpr, 0
	.set _ZN9rocsolver6v33100L8addmatA1IdPKPdEEviiT0_iilPT_.numbered_sgpr, 14
	.set _ZN9rocsolver6v33100L8addmatA1IdPKPdEEviiT0_iilPT_.num_named_barrier, 0
	.set _ZN9rocsolver6v33100L8addmatA1IdPKPdEEviiT0_iilPT_.private_seg_size, 0
	.set _ZN9rocsolver6v33100L8addmatA1IdPKPdEEviiT0_iilPT_.uses_vcc, 1
	.set _ZN9rocsolver6v33100L8addmatA1IdPKPdEEviiT0_iilPT_.uses_flat_scratch, 0
	.set _ZN9rocsolver6v33100L8addmatA1IdPKPdEEviiT0_iilPT_.has_dyn_sized_stack, 0
	.set _ZN9rocsolver6v33100L8addmatA1IdPKPdEEviiT0_iilPT_.has_recursion, 0
	.set _ZN9rocsolver6v33100L8addmatA1IdPKPdEEviiT0_iilPT_.has_indirect_call, 0
	.section	.AMDGPU.csdata,"",@progbits
; Kernel info:
; codeLenInByte = 304
; TotalNumSgprs: 18
; NumVgprs: 7
; ScratchSize: 0
; MemoryBound: 0
; FloatMode: 240
; IeeeMode: 1
; LDSByteSize: 0 bytes/workgroup (compile time only)
; SGPRBlocks: 2
; VGPRBlocks: 1
; NumSGPRsForWavesPerEU: 18
; NumVGPRsForWavesPerEU: 7
; Occupancy: 10
; WaveLimiterHint : 1
; COMPUTE_PGM_RSRC2:SCRATCH_EN: 0
; COMPUTE_PGM_RSRC2:USER_SGPR: 6
; COMPUTE_PGM_RSRC2:TRAP_HANDLER: 0
; COMPUTE_PGM_RSRC2:TGID_X_EN: 1
; COMPUTE_PGM_RSRC2:TGID_Y_EN: 1
; COMPUTE_PGM_RSRC2:TGID_Z_EN: 1
; COMPUTE_PGM_RSRC2:TIDIG_COMP_CNT: 1
	.section	.text._ZN9rocsolver6v33100L6iota_nI19rocblas_complex_numIfEEEvPT_jS4_,"axG",@progbits,_ZN9rocsolver6v33100L6iota_nI19rocblas_complex_numIfEEEvPT_jS4_,comdat
	.globl	_ZN9rocsolver6v33100L6iota_nI19rocblas_complex_numIfEEEvPT_jS4_ ; -- Begin function _ZN9rocsolver6v33100L6iota_nI19rocblas_complex_numIfEEEvPT_jS4_
	.p2align	8
	.type	_ZN9rocsolver6v33100L6iota_nI19rocblas_complex_numIfEEEvPT_jS4_,@function
_ZN9rocsolver6v33100L6iota_nI19rocblas_complex_numIfEEEvPT_jS4_: ; @_ZN9rocsolver6v33100L6iota_nI19rocblas_complex_numIfEEEvPT_jS4_
; %bb.0:
	s_load_dword s0, s[4:5], 0x8
	s_waitcnt lgkmcnt(0)
	v_cmp_gt_u32_e32 vcc, s0, v0
	s_and_saveexec_b64 s[0:1], vcc
	s_cbranch_execz .LBB30_2
; %bb.1:
	s_load_dwordx2 s[0:1], s[4:5], 0xc
	s_load_dwordx2 s[2:3], s[4:5], 0x0
	v_cvt_f32_ubyte0_e32 v1, v0
	v_lshlrev_b32_e32 v0, 3, v0
	s_waitcnt lgkmcnt(0)
	v_add_f32_e32 v1, s0, v1
	v_add_f32_e64 v2, s1, 0
	global_store_dwordx2 v0, v[1:2], s[2:3]
.LBB30_2:
	s_endpgm
	.section	.rodata,"a",@progbits
	.p2align	6, 0x0
	.amdhsa_kernel _ZN9rocsolver6v33100L6iota_nI19rocblas_complex_numIfEEEvPT_jS4_
		.amdhsa_group_segment_fixed_size 0
		.amdhsa_private_segment_fixed_size 0
		.amdhsa_kernarg_size 20
		.amdhsa_user_sgpr_count 6
		.amdhsa_user_sgpr_private_segment_buffer 1
		.amdhsa_user_sgpr_dispatch_ptr 0
		.amdhsa_user_sgpr_queue_ptr 0
		.amdhsa_user_sgpr_kernarg_segment_ptr 1
		.amdhsa_user_sgpr_dispatch_id 0
		.amdhsa_user_sgpr_flat_scratch_init 0
		.amdhsa_user_sgpr_private_segment_size 0
		.amdhsa_uses_dynamic_stack 0
		.amdhsa_system_sgpr_private_segment_wavefront_offset 0
		.amdhsa_system_sgpr_workgroup_id_x 1
		.amdhsa_system_sgpr_workgroup_id_y 0
		.amdhsa_system_sgpr_workgroup_id_z 0
		.amdhsa_system_sgpr_workgroup_info 0
		.amdhsa_system_vgpr_workitem_id 0
		.amdhsa_next_free_vgpr 3
		.amdhsa_next_free_sgpr 6
		.amdhsa_reserve_vcc 1
		.amdhsa_reserve_flat_scratch 0
		.amdhsa_float_round_mode_32 0
		.amdhsa_float_round_mode_16_64 0
		.amdhsa_float_denorm_mode_32 3
		.amdhsa_float_denorm_mode_16_64 3
		.amdhsa_dx10_clamp 1
		.amdhsa_ieee_mode 1
		.amdhsa_fp16_overflow 0
		.amdhsa_exception_fp_ieee_invalid_op 0
		.amdhsa_exception_fp_denorm_src 0
		.amdhsa_exception_fp_ieee_div_zero 0
		.amdhsa_exception_fp_ieee_overflow 0
		.amdhsa_exception_fp_ieee_underflow 0
		.amdhsa_exception_fp_ieee_inexact 0
		.amdhsa_exception_int_div_zero 0
	.end_amdhsa_kernel
	.section	.text._ZN9rocsolver6v33100L6iota_nI19rocblas_complex_numIfEEEvPT_jS4_,"axG",@progbits,_ZN9rocsolver6v33100L6iota_nI19rocblas_complex_numIfEEEvPT_jS4_,comdat
.Lfunc_end30:
	.size	_ZN9rocsolver6v33100L6iota_nI19rocblas_complex_numIfEEEvPT_jS4_, .Lfunc_end30-_ZN9rocsolver6v33100L6iota_nI19rocblas_complex_numIfEEEvPT_jS4_
                                        ; -- End function
	.set _ZN9rocsolver6v33100L6iota_nI19rocblas_complex_numIfEEEvPT_jS4_.num_vgpr, 3
	.set _ZN9rocsolver6v33100L6iota_nI19rocblas_complex_numIfEEEvPT_jS4_.num_agpr, 0
	.set _ZN9rocsolver6v33100L6iota_nI19rocblas_complex_numIfEEEvPT_jS4_.numbered_sgpr, 6
	.set _ZN9rocsolver6v33100L6iota_nI19rocblas_complex_numIfEEEvPT_jS4_.num_named_barrier, 0
	.set _ZN9rocsolver6v33100L6iota_nI19rocblas_complex_numIfEEEvPT_jS4_.private_seg_size, 0
	.set _ZN9rocsolver6v33100L6iota_nI19rocblas_complex_numIfEEEvPT_jS4_.uses_vcc, 1
	.set _ZN9rocsolver6v33100L6iota_nI19rocblas_complex_numIfEEEvPT_jS4_.uses_flat_scratch, 0
	.set _ZN9rocsolver6v33100L6iota_nI19rocblas_complex_numIfEEEvPT_jS4_.has_dyn_sized_stack, 0
	.set _ZN9rocsolver6v33100L6iota_nI19rocblas_complex_numIfEEEvPT_jS4_.has_recursion, 0
	.set _ZN9rocsolver6v33100L6iota_nI19rocblas_complex_numIfEEEvPT_jS4_.has_indirect_call, 0
	.section	.AMDGPU.csdata,"",@progbits
; Kernel info:
; codeLenInByte = 76
; TotalNumSgprs: 10
; NumVgprs: 3
; ScratchSize: 0
; MemoryBound: 0
; FloatMode: 240
; IeeeMode: 1
; LDSByteSize: 0 bytes/workgroup (compile time only)
; SGPRBlocks: 1
; VGPRBlocks: 0
; NumSGPRsForWavesPerEU: 10
; NumVGPRsForWavesPerEU: 3
; Occupancy: 10
; WaveLimiterHint : 0
; COMPUTE_PGM_RSRC2:SCRATCH_EN: 0
; COMPUTE_PGM_RSRC2:USER_SGPR: 6
; COMPUTE_PGM_RSRC2:TRAP_HANDLER: 0
; COMPUTE_PGM_RSRC2:TGID_X_EN: 1
; COMPUTE_PGM_RSRC2:TGID_Y_EN: 0
; COMPUTE_PGM_RSRC2:TGID_Z_EN: 0
; COMPUTE_PGM_RSRC2:TIDIG_COMP_CNT: 0
	.section	.text._ZN9rocsolver6v33100L13conj_in_placeI19rocblas_complex_numIfEiPKPS3_TnNSt9enable_ifIX18rocblas_is_complexIT_EEiE4typeELi0EEEvT0_SB_T1_lSB_l,"axG",@progbits,_ZN9rocsolver6v33100L13conj_in_placeI19rocblas_complex_numIfEiPKPS3_TnNSt9enable_ifIX18rocblas_is_complexIT_EEiE4typeELi0EEEvT0_SB_T1_lSB_l,comdat
	.globl	_ZN9rocsolver6v33100L13conj_in_placeI19rocblas_complex_numIfEiPKPS3_TnNSt9enable_ifIX18rocblas_is_complexIT_EEiE4typeELi0EEEvT0_SB_T1_lSB_l ; -- Begin function _ZN9rocsolver6v33100L13conj_in_placeI19rocblas_complex_numIfEiPKPS3_TnNSt9enable_ifIX18rocblas_is_complexIT_EEiE4typeELi0EEEvT0_SB_T1_lSB_l
	.p2align	8
	.type	_ZN9rocsolver6v33100L13conj_in_placeI19rocblas_complex_numIfEiPKPS3_TnNSt9enable_ifIX18rocblas_is_complexIT_EEiE4typeELi0EEEvT0_SB_T1_lSB_l,@function
_ZN9rocsolver6v33100L13conj_in_placeI19rocblas_complex_numIfEiPKPS3_TnNSt9enable_ifIX18rocblas_is_complexIT_EEiE4typeELi0EEEvT0_SB_T1_lSB_l: ; @_ZN9rocsolver6v33100L13conj_in_placeI19rocblas_complex_numIfEiPKPS3_TnNSt9enable_ifIX18rocblas_is_complexIT_EEiE4typeELi0EEEvT0_SB_T1_lSB_l
; %bb.0:
	s_load_dword s2, s[4:5], 0x34
	s_load_dwordx2 s[0:1], s[4:5], 0x0
	s_waitcnt lgkmcnt(0)
	s_lshr_b32 s3, s2, 16
	s_and_b32 s2, s2, 0xffff
	s_mul_i32 s6, s6, s2
	s_mul_i32 s7, s7, s3
	v_add_u32_e32 v0, s6, v0
	v_add_u32_e32 v1, s7, v1
	v_cmp_gt_i32_e32 vcc, s0, v0
	v_cmp_gt_i32_e64 s[0:1], s1, v1
	s_and_b64 s[0:1], vcc, s[0:1]
	s_and_saveexec_b64 s[2:3], s[0:1]
	s_cbranch_execz .LBB31_2
; %bb.1:
	s_load_dwordx4 s[0:3], s[4:5], 0x8
	s_load_dword s6, s[4:5], 0x18
	s_ashr_i32 s9, s8, 31
	s_lshl_b64 s[4:5], s[8:9], 3
	s_waitcnt lgkmcnt(0)
	s_add_u32 s0, s0, s4
	s_addc_u32 s1, s1, s5
	s_load_dwordx2 s[0:1], s[0:1], 0x0
	v_mad_i64_i32 v[2:3], s[4:5], v1, s6, 0
	s_lshl_b64 s[2:3], s[2:3], 3
	v_ashrrev_i32_e32 v1, 31, v0
	v_lshlrev_b64 v[3:4], 3, v[2:3]
	s_waitcnt lgkmcnt(0)
	s_add_u32 s0, s0, s2
	s_addc_u32 s1, s1, s3
	v_mov_b32_e32 v5, s1
	v_add_co_u32_e32 v6, vcc, s0, v3
	v_addc_co_u32_e32 v5, vcc, v5, v4, vcc
	v_lshlrev_b64 v[3:4], 3, v[0:1]
	v_add_u32_e32 v0, v2, v0
	v_add_co_u32_e32 v3, vcc, v6, v3
	v_addc_co_u32_e32 v4, vcc, v5, v4, vcc
	flat_load_dwordx2 v[3:4], v[3:4]
	v_ashrrev_i32_e32 v1, 31, v0
	v_lshlrev_b64 v[0:1], 3, v[0:1]
	v_mov_b32_e32 v2, s1
	v_add_co_u32_e32 v0, vcc, s0, v0
	v_addc_co_u32_e32 v1, vcc, v2, v1, vcc
	s_waitcnt vmcnt(0) lgkmcnt(0)
	v_xor_b32_e32 v4, 0x80000000, v4
	flat_store_dwordx2 v[0:1], v[3:4]
.LBB31_2:
	s_endpgm
	.section	.rodata,"a",@progbits
	.p2align	6, 0x0
	.amdhsa_kernel _ZN9rocsolver6v33100L13conj_in_placeI19rocblas_complex_numIfEiPKPS3_TnNSt9enable_ifIX18rocblas_is_complexIT_EEiE4typeELi0EEEvT0_SB_T1_lSB_l
		.amdhsa_group_segment_fixed_size 0
		.amdhsa_private_segment_fixed_size 0
		.amdhsa_kernarg_size 296
		.amdhsa_user_sgpr_count 6
		.amdhsa_user_sgpr_private_segment_buffer 1
		.amdhsa_user_sgpr_dispatch_ptr 0
		.amdhsa_user_sgpr_queue_ptr 0
		.amdhsa_user_sgpr_kernarg_segment_ptr 1
		.amdhsa_user_sgpr_dispatch_id 0
		.amdhsa_user_sgpr_flat_scratch_init 0
		.amdhsa_user_sgpr_private_segment_size 0
		.amdhsa_uses_dynamic_stack 0
		.amdhsa_system_sgpr_private_segment_wavefront_offset 0
		.amdhsa_system_sgpr_workgroup_id_x 1
		.amdhsa_system_sgpr_workgroup_id_y 1
		.amdhsa_system_sgpr_workgroup_id_z 1
		.amdhsa_system_sgpr_workgroup_info 0
		.amdhsa_system_vgpr_workitem_id 1
		.amdhsa_next_free_vgpr 7
		.amdhsa_next_free_sgpr 10
		.amdhsa_reserve_vcc 1
		.amdhsa_reserve_flat_scratch 0
		.amdhsa_float_round_mode_32 0
		.amdhsa_float_round_mode_16_64 0
		.amdhsa_float_denorm_mode_32 3
		.amdhsa_float_denorm_mode_16_64 3
		.amdhsa_dx10_clamp 1
		.amdhsa_ieee_mode 1
		.amdhsa_fp16_overflow 0
		.amdhsa_exception_fp_ieee_invalid_op 0
		.amdhsa_exception_fp_denorm_src 0
		.amdhsa_exception_fp_ieee_div_zero 0
		.amdhsa_exception_fp_ieee_overflow 0
		.amdhsa_exception_fp_ieee_underflow 0
		.amdhsa_exception_fp_ieee_inexact 0
		.amdhsa_exception_int_div_zero 0
	.end_amdhsa_kernel
	.section	.text._ZN9rocsolver6v33100L13conj_in_placeI19rocblas_complex_numIfEiPKPS3_TnNSt9enable_ifIX18rocblas_is_complexIT_EEiE4typeELi0EEEvT0_SB_T1_lSB_l,"axG",@progbits,_ZN9rocsolver6v33100L13conj_in_placeI19rocblas_complex_numIfEiPKPS3_TnNSt9enable_ifIX18rocblas_is_complexIT_EEiE4typeELi0EEEvT0_SB_T1_lSB_l,comdat
.Lfunc_end31:
	.size	_ZN9rocsolver6v33100L13conj_in_placeI19rocblas_complex_numIfEiPKPS3_TnNSt9enable_ifIX18rocblas_is_complexIT_EEiE4typeELi0EEEvT0_SB_T1_lSB_l, .Lfunc_end31-_ZN9rocsolver6v33100L13conj_in_placeI19rocblas_complex_numIfEiPKPS3_TnNSt9enable_ifIX18rocblas_is_complexIT_EEiE4typeELi0EEEvT0_SB_T1_lSB_l
                                        ; -- End function
	.set _ZN9rocsolver6v33100L13conj_in_placeI19rocblas_complex_numIfEiPKPS3_TnNSt9enable_ifIX18rocblas_is_complexIT_EEiE4typeELi0EEEvT0_SB_T1_lSB_l.num_vgpr, 7
	.set _ZN9rocsolver6v33100L13conj_in_placeI19rocblas_complex_numIfEiPKPS3_TnNSt9enable_ifIX18rocblas_is_complexIT_EEiE4typeELi0EEEvT0_SB_T1_lSB_l.num_agpr, 0
	.set _ZN9rocsolver6v33100L13conj_in_placeI19rocblas_complex_numIfEiPKPS3_TnNSt9enable_ifIX18rocblas_is_complexIT_EEiE4typeELi0EEEvT0_SB_T1_lSB_l.numbered_sgpr, 10
	.set _ZN9rocsolver6v33100L13conj_in_placeI19rocblas_complex_numIfEiPKPS3_TnNSt9enable_ifIX18rocblas_is_complexIT_EEiE4typeELi0EEEvT0_SB_T1_lSB_l.num_named_barrier, 0
	.set _ZN9rocsolver6v33100L13conj_in_placeI19rocblas_complex_numIfEiPKPS3_TnNSt9enable_ifIX18rocblas_is_complexIT_EEiE4typeELi0EEEvT0_SB_T1_lSB_l.private_seg_size, 0
	.set _ZN9rocsolver6v33100L13conj_in_placeI19rocblas_complex_numIfEiPKPS3_TnNSt9enable_ifIX18rocblas_is_complexIT_EEiE4typeELi0EEEvT0_SB_T1_lSB_l.uses_vcc, 1
	.set _ZN9rocsolver6v33100L13conj_in_placeI19rocblas_complex_numIfEiPKPS3_TnNSt9enable_ifIX18rocblas_is_complexIT_EEiE4typeELi0EEEvT0_SB_T1_lSB_l.uses_flat_scratch, 0
	.set _ZN9rocsolver6v33100L13conj_in_placeI19rocblas_complex_numIfEiPKPS3_TnNSt9enable_ifIX18rocblas_is_complexIT_EEiE4typeELi0EEEvT0_SB_T1_lSB_l.has_dyn_sized_stack, 0
	.set _ZN9rocsolver6v33100L13conj_in_placeI19rocblas_complex_numIfEiPKPS3_TnNSt9enable_ifIX18rocblas_is_complexIT_EEiE4typeELi0EEEvT0_SB_T1_lSB_l.has_recursion, 0
	.set _ZN9rocsolver6v33100L13conj_in_placeI19rocblas_complex_numIfEiPKPS3_TnNSt9enable_ifIX18rocblas_is_complexIT_EEiE4typeELi0EEEvT0_SB_T1_lSB_l.has_indirect_call, 0
	.section	.AMDGPU.csdata,"",@progbits
; Kernel info:
; codeLenInByte = 240
; TotalNumSgprs: 14
; NumVgprs: 7
; ScratchSize: 0
; MemoryBound: 0
; FloatMode: 240
; IeeeMode: 1
; LDSByteSize: 0 bytes/workgroup (compile time only)
; SGPRBlocks: 1
; VGPRBlocks: 1
; NumSGPRsForWavesPerEU: 14
; NumVGPRsForWavesPerEU: 7
; Occupancy: 10
; WaveLimiterHint : 1
; COMPUTE_PGM_RSRC2:SCRATCH_EN: 0
; COMPUTE_PGM_RSRC2:USER_SGPR: 6
; COMPUTE_PGM_RSRC2:TRAP_HANDLER: 0
; COMPUTE_PGM_RSRC2:TGID_X_EN: 1
; COMPUTE_PGM_RSRC2:TGID_Y_EN: 1
; COMPUTE_PGM_RSRC2:TGID_Z_EN: 1
; COMPUTE_PGM_RSRC2:TIDIG_COMP_CNT: 1
	.section	.text._ZN9rocsolver6v33100L16reset_batch_infoI19rocblas_complex_numIfEiiPS3_EEvT2_lT0_T1_,"axG",@progbits,_ZN9rocsolver6v33100L16reset_batch_infoI19rocblas_complex_numIfEiiPS3_EEvT2_lT0_T1_,comdat
	.globl	_ZN9rocsolver6v33100L16reset_batch_infoI19rocblas_complex_numIfEiiPS3_EEvT2_lT0_T1_ ; -- Begin function _ZN9rocsolver6v33100L16reset_batch_infoI19rocblas_complex_numIfEiiPS3_EEvT2_lT0_T1_
	.p2align	8
	.type	_ZN9rocsolver6v33100L16reset_batch_infoI19rocblas_complex_numIfEiiPS3_EEvT2_lT0_T1_,@function
_ZN9rocsolver6v33100L16reset_batch_infoI19rocblas_complex_numIfEiiPS3_EEvT2_lT0_T1_: ; @_ZN9rocsolver6v33100L16reset_batch_infoI19rocblas_complex_numIfEiiPS3_EEvT2_lT0_T1_
; %bb.0:
	s_load_dword s2, s[4:5], 0x24
	s_load_dwordx2 s[0:1], s[4:5], 0x10
	s_waitcnt lgkmcnt(0)
	s_and_b32 s2, s2, 0xffff
	s_mul_i32 s6, s6, s2
	v_add_u32_e32 v0, s6, v0
	v_cmp_gt_i32_e32 vcc, s0, v0
	s_and_saveexec_b64 s[2:3], vcc
	s_cbranch_execz .LBB32_2
; %bb.1:
	s_load_dwordx4 s[8:11], s[4:5], 0x0
	s_ashr_i32 s0, s7, 31
	v_ashrrev_i32_e32 v1, 31, v0
	v_lshlrev_b64 v[0:1], 3, v[0:1]
	v_cvt_f32_i32_e32 v2, s1
	s_waitcnt lgkmcnt(0)
	s_mul_hi_u32 s3, s10, s7
	s_mul_i32 s0, s10, s0
	s_mul_i32 s4, s11, s7
	s_add_i32 s0, s3, s0
	s_mul_i32 s2, s10, s7
	s_add_i32 s3, s0, s4
	s_lshl_b64 s[2:3], s[2:3], 3
	s_add_u32 s0, s8, s2
	s_addc_u32 s2, s9, s3
	v_mov_b32_e32 v3, s2
	v_add_co_u32_e32 v0, vcc, s0, v0
	v_addc_co_u32_e32 v1, vcc, v3, v1, vcc
	v_mov_b32_e32 v3, 0
	global_store_dwordx2 v[0:1], v[2:3], off
.LBB32_2:
	s_endpgm
	.section	.rodata,"a",@progbits
	.p2align	6, 0x0
	.amdhsa_kernel _ZN9rocsolver6v33100L16reset_batch_infoI19rocblas_complex_numIfEiiPS3_EEvT2_lT0_T1_
		.amdhsa_group_segment_fixed_size 0
		.amdhsa_private_segment_fixed_size 0
		.amdhsa_kernarg_size 280
		.amdhsa_user_sgpr_count 6
		.amdhsa_user_sgpr_private_segment_buffer 1
		.amdhsa_user_sgpr_dispatch_ptr 0
		.amdhsa_user_sgpr_queue_ptr 0
		.amdhsa_user_sgpr_kernarg_segment_ptr 1
		.amdhsa_user_sgpr_dispatch_id 0
		.amdhsa_user_sgpr_flat_scratch_init 0
		.amdhsa_user_sgpr_private_segment_size 0
		.amdhsa_uses_dynamic_stack 0
		.amdhsa_system_sgpr_private_segment_wavefront_offset 0
		.amdhsa_system_sgpr_workgroup_id_x 1
		.amdhsa_system_sgpr_workgroup_id_y 1
		.amdhsa_system_sgpr_workgroup_id_z 0
		.amdhsa_system_sgpr_workgroup_info 0
		.amdhsa_system_vgpr_workitem_id 0
		.amdhsa_next_free_vgpr 4
		.amdhsa_next_free_sgpr 12
		.amdhsa_reserve_vcc 1
		.amdhsa_reserve_flat_scratch 0
		.amdhsa_float_round_mode_32 0
		.amdhsa_float_round_mode_16_64 0
		.amdhsa_float_denorm_mode_32 3
		.amdhsa_float_denorm_mode_16_64 3
		.amdhsa_dx10_clamp 1
		.amdhsa_ieee_mode 1
		.amdhsa_fp16_overflow 0
		.amdhsa_exception_fp_ieee_invalid_op 0
		.amdhsa_exception_fp_denorm_src 0
		.amdhsa_exception_fp_ieee_div_zero 0
		.amdhsa_exception_fp_ieee_overflow 0
		.amdhsa_exception_fp_ieee_underflow 0
		.amdhsa_exception_fp_ieee_inexact 0
		.amdhsa_exception_int_div_zero 0
	.end_amdhsa_kernel
	.section	.text._ZN9rocsolver6v33100L16reset_batch_infoI19rocblas_complex_numIfEiiPS3_EEvT2_lT0_T1_,"axG",@progbits,_ZN9rocsolver6v33100L16reset_batch_infoI19rocblas_complex_numIfEiiPS3_EEvT2_lT0_T1_,comdat
.Lfunc_end32:
	.size	_ZN9rocsolver6v33100L16reset_batch_infoI19rocblas_complex_numIfEiiPS3_EEvT2_lT0_T1_, .Lfunc_end32-_ZN9rocsolver6v33100L16reset_batch_infoI19rocblas_complex_numIfEiiPS3_EEvT2_lT0_T1_
                                        ; -- End function
	.set _ZN9rocsolver6v33100L16reset_batch_infoI19rocblas_complex_numIfEiiPS3_EEvT2_lT0_T1_.num_vgpr, 4
	.set _ZN9rocsolver6v33100L16reset_batch_infoI19rocblas_complex_numIfEiiPS3_EEvT2_lT0_T1_.num_agpr, 0
	.set _ZN9rocsolver6v33100L16reset_batch_infoI19rocblas_complex_numIfEiiPS3_EEvT2_lT0_T1_.numbered_sgpr, 12
	.set _ZN9rocsolver6v33100L16reset_batch_infoI19rocblas_complex_numIfEiiPS3_EEvT2_lT0_T1_.num_named_barrier, 0
	.set _ZN9rocsolver6v33100L16reset_batch_infoI19rocblas_complex_numIfEiiPS3_EEvT2_lT0_T1_.private_seg_size, 0
	.set _ZN9rocsolver6v33100L16reset_batch_infoI19rocblas_complex_numIfEiiPS3_EEvT2_lT0_T1_.uses_vcc, 1
	.set _ZN9rocsolver6v33100L16reset_batch_infoI19rocblas_complex_numIfEiiPS3_EEvT2_lT0_T1_.uses_flat_scratch, 0
	.set _ZN9rocsolver6v33100L16reset_batch_infoI19rocblas_complex_numIfEiiPS3_EEvT2_lT0_T1_.has_dyn_sized_stack, 0
	.set _ZN9rocsolver6v33100L16reset_batch_infoI19rocblas_complex_numIfEiiPS3_EEvT2_lT0_T1_.has_recursion, 0
	.set _ZN9rocsolver6v33100L16reset_batch_infoI19rocblas_complex_numIfEiiPS3_EEvT2_lT0_T1_.has_indirect_call, 0
	.section	.AMDGPU.csdata,"",@progbits
; Kernel info:
; codeLenInByte = 144
; TotalNumSgprs: 16
; NumVgprs: 4
; ScratchSize: 0
; MemoryBound: 0
; FloatMode: 240
; IeeeMode: 1
; LDSByteSize: 0 bytes/workgroup (compile time only)
; SGPRBlocks: 1
; VGPRBlocks: 0
; NumSGPRsForWavesPerEU: 16
; NumVGPRsForWavesPerEU: 4
; Occupancy: 10
; WaveLimiterHint : 0
; COMPUTE_PGM_RSRC2:SCRATCH_EN: 0
; COMPUTE_PGM_RSRC2:USER_SGPR: 6
; COMPUTE_PGM_RSRC2:TRAP_HANDLER: 0
; COMPUTE_PGM_RSRC2:TGID_X_EN: 1
; COMPUTE_PGM_RSRC2:TGID_Y_EN: 1
; COMPUTE_PGM_RSRC2:TGID_Z_EN: 0
; COMPUTE_PGM_RSRC2:TIDIG_COMP_CNT: 0
	.section	.text._ZN9rocsolver6v33100L8set_diagI19rocblas_complex_numIfEifPKPS3_TnNSt9enable_ifIXaa18rocblas_is_complexIT_Ent18rocblas_is_complexIT1_EEiE4typeELi0EEEvPS9_llT2_lT0_lSE_b,"axG",@progbits,_ZN9rocsolver6v33100L8set_diagI19rocblas_complex_numIfEifPKPS3_TnNSt9enable_ifIXaa18rocblas_is_complexIT_Ent18rocblas_is_complexIT1_EEiE4typeELi0EEEvPS9_llT2_lT0_lSE_b,comdat
	.globl	_ZN9rocsolver6v33100L8set_diagI19rocblas_complex_numIfEifPKPS3_TnNSt9enable_ifIXaa18rocblas_is_complexIT_Ent18rocblas_is_complexIT1_EEiE4typeELi0EEEvPS9_llT2_lT0_lSE_b ; -- Begin function _ZN9rocsolver6v33100L8set_diagI19rocblas_complex_numIfEifPKPS3_TnNSt9enable_ifIXaa18rocblas_is_complexIT_Ent18rocblas_is_complexIT1_EEiE4typeELi0EEEvPS9_llT2_lT0_lSE_b
	.p2align	8
	.type	_ZN9rocsolver6v33100L8set_diagI19rocblas_complex_numIfEifPKPS3_TnNSt9enable_ifIXaa18rocblas_is_complexIT_Ent18rocblas_is_complexIT1_EEiE4typeELi0EEEvPS9_llT2_lT0_lSE_b,@function
_ZN9rocsolver6v33100L8set_diagI19rocblas_complex_numIfEifPKPS3_TnNSt9enable_ifIXaa18rocblas_is_complexIT_Ent18rocblas_is_complexIT1_EEiE4typeELi0EEEvPS9_llT2_lT0_lSE_b: ; @_ZN9rocsolver6v33100L8set_diagI19rocblas_complex_numIfEifPKPS3_TnNSt9enable_ifIXaa18rocblas_is_complexIT_Ent18rocblas_is_complexIT1_EEiE4typeELi0EEEvPS9_llT2_lT0_lSE_b
; %bb.0:
	s_load_dword s2, s[4:5], 0x4c
	s_load_dwordx2 s[0:1], s[4:5], 0x38
	s_waitcnt lgkmcnt(0)
	s_lshr_b32 s2, s2, 16
	s_mul_i32 s7, s7, s2
	v_add_u32_e32 v0, s7, v1
	v_cmp_gt_i32_e32 vcc, s0, v0
	s_and_saveexec_b64 s[2:3], vcc
	s_cbranch_execz .LBB33_5
; %bb.1:
	s_load_dwordx8 s[8:15], s[4:5], 0x0
	s_load_dwordx2 s[2:3], s[4:5], 0x20
	s_load_dword s16, s[4:5], 0x28
	s_bitcmp1_b32 s1, 0
	s_cselect_b64 s[0:1], -1, 0
	s_ashr_i32 s7, s6, 31
	s_lshl_b64 s[4:5], s[6:7], 3
	s_waitcnt lgkmcnt(0)
	s_add_u32 s4, s14, s4
	s_addc_u32 s5, s15, s5
	s_load_dwordx2 s[4:5], s[4:5], 0x0
	v_mad_u64_u32 v[1:2], s[14:15], v0, s16, v[0:1]
	s_lshl_b64 s[2:3], s[2:3], 3
	v_ashrrev_i32_e32 v2, 31, v1
	s_waitcnt lgkmcnt(0)
	s_add_u32 s2, s4, s2
	v_lshlrev_b64 v[2:3], 3, v[1:2]
	s_addc_u32 s3, s5, s3
	v_mov_b32_e32 v1, s3
	v_add_co_u32_e32 v2, vcc, s2, v2
	v_addc_co_u32_e32 v3, vcc, v1, v3, vcc
	flat_load_dword v4, v[2:3]
	s_mul_hi_u32 s3, s12, s6
	s_mul_i32 s4, s12, s7
	s_mul_i32 s5, s13, s6
	s_add_i32 s3, s3, s4
	s_mul_i32 s2, s12, s6
	s_add_i32 s3, s3, s5
	s_lshl_b64 s[2:3], s[2:3], 2
	s_add_u32 s4, s8, s2
	v_ashrrev_i32_e32 v1, 31, v0
	s_addc_u32 s5, s9, s3
	s_lshl_b64 s[2:3], s[10:11], 2
	v_lshlrev_b64 v[0:1], 2, v[0:1]
	s_add_u32 s2, s4, s2
	s_addc_u32 s3, s5, s3
	s_and_b64 vcc, exec, s[0:1]
	v_mov_b32_e32 v5, s3
	v_add_co_u32_e64 v0, s[0:1], s2, v0
	v_addc_co_u32_e64 v1, s[0:1], v5, v1, s[0:1]
	s_waitcnt vmcnt(0) lgkmcnt(0)
	global_store_dword v[0:1], v4, off
	s_cbranch_vccnz .LBB33_3
; %bb.2:
	flat_load_dword v5, v[2:3] offset:4
	s_branch .LBB33_4
.LBB33_3:
	v_mov_b32_e32 v4, 1.0
	v_mov_b32_e32 v5, 0
.LBB33_4:
	s_waitcnt vmcnt(0) lgkmcnt(0)
	flat_store_dwordx2 v[2:3], v[4:5]
.LBB33_5:
	s_endpgm
	.section	.rodata,"a",@progbits
	.p2align	6, 0x0
	.amdhsa_kernel _ZN9rocsolver6v33100L8set_diagI19rocblas_complex_numIfEifPKPS3_TnNSt9enable_ifIXaa18rocblas_is_complexIT_Ent18rocblas_is_complexIT1_EEiE4typeELi0EEEvPS9_llT2_lT0_lSE_b
		.amdhsa_group_segment_fixed_size 0
		.amdhsa_private_segment_fixed_size 0
		.amdhsa_kernarg_size 320
		.amdhsa_user_sgpr_count 6
		.amdhsa_user_sgpr_private_segment_buffer 1
		.amdhsa_user_sgpr_dispatch_ptr 0
		.amdhsa_user_sgpr_queue_ptr 0
		.amdhsa_user_sgpr_kernarg_segment_ptr 1
		.amdhsa_user_sgpr_dispatch_id 0
		.amdhsa_user_sgpr_flat_scratch_init 0
		.amdhsa_user_sgpr_private_segment_size 0
		.amdhsa_uses_dynamic_stack 0
		.amdhsa_system_sgpr_private_segment_wavefront_offset 0
		.amdhsa_system_sgpr_workgroup_id_x 1
		.amdhsa_system_sgpr_workgroup_id_y 1
		.amdhsa_system_sgpr_workgroup_id_z 0
		.amdhsa_system_sgpr_workgroup_info 0
		.amdhsa_system_vgpr_workitem_id 1
		.amdhsa_next_free_vgpr 6
		.amdhsa_next_free_sgpr 17
		.amdhsa_reserve_vcc 1
		.amdhsa_reserve_flat_scratch 0
		.amdhsa_float_round_mode_32 0
		.amdhsa_float_round_mode_16_64 0
		.amdhsa_float_denorm_mode_32 3
		.amdhsa_float_denorm_mode_16_64 3
		.amdhsa_dx10_clamp 1
		.amdhsa_ieee_mode 1
		.amdhsa_fp16_overflow 0
		.amdhsa_exception_fp_ieee_invalid_op 0
		.amdhsa_exception_fp_denorm_src 0
		.amdhsa_exception_fp_ieee_div_zero 0
		.amdhsa_exception_fp_ieee_overflow 0
		.amdhsa_exception_fp_ieee_underflow 0
		.amdhsa_exception_fp_ieee_inexact 0
		.amdhsa_exception_int_div_zero 0
	.end_amdhsa_kernel
	.section	.text._ZN9rocsolver6v33100L8set_diagI19rocblas_complex_numIfEifPKPS3_TnNSt9enable_ifIXaa18rocblas_is_complexIT_Ent18rocblas_is_complexIT1_EEiE4typeELi0EEEvPS9_llT2_lT0_lSE_b,"axG",@progbits,_ZN9rocsolver6v33100L8set_diagI19rocblas_complex_numIfEifPKPS3_TnNSt9enable_ifIXaa18rocblas_is_complexIT_Ent18rocblas_is_complexIT1_EEiE4typeELi0EEEvPS9_llT2_lT0_lSE_b,comdat
.Lfunc_end33:
	.size	_ZN9rocsolver6v33100L8set_diagI19rocblas_complex_numIfEifPKPS3_TnNSt9enable_ifIXaa18rocblas_is_complexIT_Ent18rocblas_is_complexIT1_EEiE4typeELi0EEEvPS9_llT2_lT0_lSE_b, .Lfunc_end33-_ZN9rocsolver6v33100L8set_diagI19rocblas_complex_numIfEifPKPS3_TnNSt9enable_ifIXaa18rocblas_is_complexIT_Ent18rocblas_is_complexIT1_EEiE4typeELi0EEEvPS9_llT2_lT0_lSE_b
                                        ; -- End function
	.set _ZN9rocsolver6v33100L8set_diagI19rocblas_complex_numIfEifPKPS3_TnNSt9enable_ifIXaa18rocblas_is_complexIT_Ent18rocblas_is_complexIT1_EEiE4typeELi0EEEvPS9_llT2_lT0_lSE_b.num_vgpr, 6
	.set _ZN9rocsolver6v33100L8set_diagI19rocblas_complex_numIfEifPKPS3_TnNSt9enable_ifIXaa18rocblas_is_complexIT_Ent18rocblas_is_complexIT1_EEiE4typeELi0EEEvPS9_llT2_lT0_lSE_b.num_agpr, 0
	.set _ZN9rocsolver6v33100L8set_diagI19rocblas_complex_numIfEifPKPS3_TnNSt9enable_ifIXaa18rocblas_is_complexIT_Ent18rocblas_is_complexIT1_EEiE4typeELi0EEEvPS9_llT2_lT0_lSE_b.numbered_sgpr, 17
	.set _ZN9rocsolver6v33100L8set_diagI19rocblas_complex_numIfEifPKPS3_TnNSt9enable_ifIXaa18rocblas_is_complexIT_Ent18rocblas_is_complexIT1_EEiE4typeELi0EEEvPS9_llT2_lT0_lSE_b.num_named_barrier, 0
	.set _ZN9rocsolver6v33100L8set_diagI19rocblas_complex_numIfEifPKPS3_TnNSt9enable_ifIXaa18rocblas_is_complexIT_Ent18rocblas_is_complexIT1_EEiE4typeELi0EEEvPS9_llT2_lT0_lSE_b.private_seg_size, 0
	.set _ZN9rocsolver6v33100L8set_diagI19rocblas_complex_numIfEifPKPS3_TnNSt9enable_ifIXaa18rocblas_is_complexIT_Ent18rocblas_is_complexIT1_EEiE4typeELi0EEEvPS9_llT2_lT0_lSE_b.uses_vcc, 1
	.set _ZN9rocsolver6v33100L8set_diagI19rocblas_complex_numIfEifPKPS3_TnNSt9enable_ifIXaa18rocblas_is_complexIT_Ent18rocblas_is_complexIT1_EEiE4typeELi0EEEvPS9_llT2_lT0_lSE_b.uses_flat_scratch, 0
	.set _ZN9rocsolver6v33100L8set_diagI19rocblas_complex_numIfEifPKPS3_TnNSt9enable_ifIXaa18rocblas_is_complexIT_Ent18rocblas_is_complexIT1_EEiE4typeELi0EEEvPS9_llT2_lT0_lSE_b.has_dyn_sized_stack, 0
	.set _ZN9rocsolver6v33100L8set_diagI19rocblas_complex_numIfEifPKPS3_TnNSt9enable_ifIXaa18rocblas_is_complexIT_Ent18rocblas_is_complexIT1_EEiE4typeELi0EEEvPS9_llT2_lT0_lSE_b.has_recursion, 0
	.set _ZN9rocsolver6v33100L8set_diagI19rocblas_complex_numIfEifPKPS3_TnNSt9enable_ifIXaa18rocblas_is_complexIT_Ent18rocblas_is_complexIT1_EEiE4typeELi0EEEvPS9_llT2_lT0_lSE_b.has_indirect_call, 0
	.section	.AMDGPU.csdata,"",@progbits
; Kernel info:
; codeLenInByte = 296
; TotalNumSgprs: 21
; NumVgprs: 6
; ScratchSize: 0
; MemoryBound: 0
; FloatMode: 240
; IeeeMode: 1
; LDSByteSize: 0 bytes/workgroup (compile time only)
; SGPRBlocks: 2
; VGPRBlocks: 1
; NumSGPRsForWavesPerEU: 21
; NumVGPRsForWavesPerEU: 6
; Occupancy: 10
; WaveLimiterHint : 1
; COMPUTE_PGM_RSRC2:SCRATCH_EN: 0
; COMPUTE_PGM_RSRC2:USER_SGPR: 6
; COMPUTE_PGM_RSRC2:TRAP_HANDLER: 0
; COMPUTE_PGM_RSRC2:TGID_X_EN: 1
; COMPUTE_PGM_RSRC2:TGID_Y_EN: 1
; COMPUTE_PGM_RSRC2:TGID_Z_EN: 0
; COMPUTE_PGM_RSRC2:TIDIG_COMP_CNT: 1
	.section	.text._ZN9rocsolver6v33100L11set_taubetaI19rocblas_complex_numIfEifPKPS3_EEvPT_lS8_T2_llPT1_ll,"axG",@progbits,_ZN9rocsolver6v33100L11set_taubetaI19rocblas_complex_numIfEifPKPS3_EEvPT_lS8_T2_llPT1_ll,comdat
	.globl	_ZN9rocsolver6v33100L11set_taubetaI19rocblas_complex_numIfEifPKPS3_EEvPT_lS8_T2_llPT1_ll ; -- Begin function _ZN9rocsolver6v33100L11set_taubetaI19rocblas_complex_numIfEifPKPS3_EEvPT_lS8_T2_llPT1_ll
	.p2align	8
	.type	_ZN9rocsolver6v33100L11set_taubetaI19rocblas_complex_numIfEifPKPS3_EEvPT_lS8_T2_llPT1_ll,@function
_ZN9rocsolver6v33100L11set_taubetaI19rocblas_complex_numIfEifPKPS3_EEvPT_lS8_T2_llPT1_ll: ; @_ZN9rocsolver6v33100L11set_taubetaI19rocblas_complex_numIfEifPKPS3_EEvPT_lS8_T2_llPT1_ll
; %bb.0:
	s_load_dwordx8 s[8:15], s[4:5], 0x0
	s_load_dwordx2 s[22:23], s[4:5], 0x20
	s_load_dwordx4 s[0:3], s[4:5], 0x30
	s_ashr_i32 s7, s6, 31
	s_lshl_b64 s[20:21], s[6:7], 3
	s_waitcnt lgkmcnt(0)
	s_add_u32 s14, s14, s20
	s_addc_u32 s15, s15, s21
	s_load_dwordx2 s[14:15], s[14:15], 0x0
	s_mov_b64 s[16:17], 0
	s_cmp_eq_u64 s[0:1], 0
	s_mov_b64 s[18:19], 0
	s_cbranch_scc1 .LBB34_2
; %bb.1:
	s_load_dwordx2 s[4:5], s[4:5], 0x40
	s_waitcnt lgkmcnt(0)
	s_mul_i32 s18, s4, s7
	s_mul_hi_u32 s19, s4, s6
	s_mul_i32 s5, s5, s6
	s_add_i32 s18, s19, s18
	s_mul_i32 s4, s4, s6
	s_add_i32 s5, s18, s5
	s_lshl_b64 s[4:5], s[4:5], 2
	s_add_u32 s4, s0, s4
	s_addc_u32 s5, s1, s5
	s_lshl_b64 s[0:1], s[2:3], 2
	s_add_u32 s18, s4, s0
	s_addc_u32 s19, s5, s1
.LBB34_2:
	s_lshl_b64 s[0:1], s[22:23], 3
	s_waitcnt lgkmcnt(0)
	s_add_u32 s14, s14, s0
	s_addc_u32 s15, s15, s1
	v_mov_b32_e32 v0, s14
	v_mov_b32_e32 v1, s15
	flat_load_dword v0, v[0:1] offset:4
	s_mul_i32 s1, s10, s7
	s_mul_hi_u32 s2, s10, s6
	s_mul_i32 s3, s11, s6
	s_add_i32 s1, s2, s1
	s_mul_i32 s0, s10, s6
	s_add_i32 s1, s1, s3
	s_lshl_b64 s[0:1], s[0:1], 3
	s_add_u32 s6, s8, s0
	s_addc_u32 s7, s9, s1
	s_add_u32 s8, s12, s20
	s_addc_u32 s9, s13, s21
	s_load_dword s4, s[8:9], 0x0
	s_cmp_lg_u64 s[18:19], 0
	s_cselect_b64 s[10:11], -1, 0
	s_waitcnt lgkmcnt(0)
	v_max_f32_e64 v2, s4, s4
	s_waitcnt vmcnt(0)
	v_mul_f32_e32 v1, v0, v0
	v_max_f32_e32 v2, v2, v1
	v_cmp_nlt_f32_e32 vcc, 0, v2
	s_and_saveexec_b64 s[0:1], vcc
	s_xor_b64 s[0:1], exec, s[0:1]
	s_cbranch_execz .LBB34_7
; %bb.3:
	v_mov_b32_e32 v1, 0
	v_mov_b32_e32 v0, 1.0
	v_mov_b32_e32 v2, v1
	v_mov_b32_e32 v3, v1
	s_and_b64 vcc, exec, s[10:11]
	global_store_dwordx2 v1, v[0:1], s[8:9]
	global_store_dwordx2 v1, v[2:3], s[6:7]
	s_cbranch_vccz .LBB34_13
; %bb.4:
	v_mov_b32_e32 v2, s14
	v_mov_b32_e32 v3, s15
	flat_load_dword v4, v[2:3]
	s_mov_b64 s[2:3], -1
	s_waitcnt vmcnt(0) lgkmcnt(0)
	global_store_dword v1, v4, s[18:19]
	flat_store_dword v[2:3], v0
	s_and_b64 s[16:17], s[2:3], exec
                                        ; implicit-def: $vgpr1
                                        ; implicit-def: $vgpr0
	s_andn2_saveexec_b64 s[12:13], s[0:1]
	s_cbranch_execnz .LBB34_8
.LBB34_5:
	s_or_b64 exec, exec, s[12:13]
	s_and_saveexec_b64 s[0:1], s[16:17]
	s_cbranch_execz .LBB34_12
.LBB34_6:
	v_mov_b32_e32 v0, s14
	v_mov_b32_e32 v2, 0
	;; [unrolled: 1-line block ×3, first 2 shown]
	flat_store_dword v[0:1], v2 offset:4
	s_endpgm
.LBB34_7:
	s_andn2_saveexec_b64 s[12:13], s[0:1]
	s_cbranch_execz .LBB34_5
.LBB34_8:
	v_mov_b32_e32 v2, s14
	v_mov_b32_e32 v3, s15
	flat_load_dword v3, v[2:3]
	s_mov_b32 s0, 0xf800000
	v_mov_b32_e32 v5, 0x260
	s_waitcnt vmcnt(0) lgkmcnt(0)
	v_fma_f32 v2, v3, v3, v1
	v_add_f32_e32 v2, s4, v2
	v_mul_f32_e32 v4, 0x4f800000, v2
	v_cmp_gt_f32_e32 vcc, s0, v2
	v_cndmask_b32_e32 v2, v2, v4, vcc
	v_sqrt_f32_e32 v4, v2
	v_add_u32_e32 v6, -1, v4
	v_add_u32_e32 v7, 1, v4
	v_fma_f32 v8, -v6, v4, v2
	v_fma_f32 v9, -v7, v4, v2
	v_cmp_ge_f32_e64 s[0:1], 0, v8
	v_cndmask_b32_e64 v4, v4, v6, s[0:1]
	v_cmp_lt_f32_e64 s[0:1], 0, v9
	v_cndmask_b32_e64 v4, v4, v7, s[0:1]
	v_mul_f32_e32 v6, 0x37800000, v4
	v_cndmask_b32_e32 v4, v4, v6, vcc
	v_cmp_class_f32_e32 vcc, v2, v5
	v_cndmask_b32_e32 v2, v4, v2, vcc
	v_cmp_le_f32_e32 vcc, 0, v3
	v_cndmask_b32_e64 v2, v2, -v2, vcc
	v_sub_f32_e32 v4, v3, v2
	v_sub_f32_e32 v6, v2, v3
	v_div_scale_f32 v3, s[0:1], v2, v2, -v0
	v_fmac_f32_e32 v1, v4, v4
	v_div_scale_f32 v5, s[0:1], v2, v2, v6
	v_div_scale_f32 v7, s[0:1], v1, v1, v4
	v_div_scale_f32 v8, s[0:1], v1, v1, -v0
	v_div_scale_f32 v9, s[0:1], -v0, v2, -v0
	v_div_scale_f32 v10, s[2:3], v6, v2, v6
	v_div_scale_f32 v11, vcc, v4, v1, v4
	v_div_scale_f32 v12, s[4:5], -v0, v1, -v0
	v_rcp_f32_e32 v13, v3
	v_rcp_f32_e32 v14, v5
	;; [unrolled: 1-line block ×3, first 2 shown]
	v_fma_f32 v17, -v3, v13, 1.0
	v_rcp_f32_e32 v16, v8
	v_fma_f32 v18, -v5, v14, 1.0
	v_fmac_f32_e32 v13, v17, v13
	v_fma_f32 v17, -v7, v15, 1.0
	v_fma_f32 v19, -v8, v16, 1.0
	v_fmac_f32_e32 v14, v18, v14
	v_mul_f32_e32 v18, v9, v13
	v_fmac_f32_e32 v15, v17, v15
	v_fmac_f32_e32 v16, v19, v16
	v_mul_f32_e32 v17, v10, v14
	v_fma_f32 v19, -v3, v18, v9
	v_fmac_f32_e32 v18, v19, v13
	v_fma_f32 v19, -v5, v17, v10
	v_fmac_f32_e32 v17, v19, v14
	v_mul_f32_e32 v19, v11, v15
	v_fma_f32 v3, -v3, v18, v9
	v_fma_f32 v9, -v7, v19, v11
	v_fmac_f32_e32 v19, v9, v15
	v_mul_f32_e32 v9, v12, v16
	v_fma_f32 v20, -v8, v9, v12
	v_fmac_f32_e32 v9, v20, v16
	v_fma_f32 v7, -v7, v19, v11
	v_fma_f32 v8, -v8, v9, v12
	v_div_fmas_f32 v7, v7, v15, v19
	s_mov_b64 vcc, s[4:5]
	v_fma_f32 v5, -v5, v17, v10
	v_div_fmas_f32 v8, v8, v16, v9
	s_mov_b64 vcc, s[2:3]
	v_div_fmas_f32 v9, v5, v14, v17
	s_mov_b64 vcc, s[0:1]
	v_div_fmas_f32 v10, v3, v13, v18
	v_mov_b32_e32 v3, 0
	s_and_b64 vcc, exec, s[10:11]
	v_div_fixup_f32 v4, v7, v1, v4
	v_div_fixup_f32 v5, v8, v1, -v0
	global_store_dwordx2 v3, v[4:5], s[8:9]
	v_div_fixup_f32 v4, v9, v2, v6
	v_div_fixup_f32 v5, v10, v2, -v0
	global_store_dwordx2 v3, v[4:5], s[6:7]
	s_cbranch_vccz .LBB34_14
; %bb.9:
	v_mov_b32_e32 v0, s14
	global_store_dword v3, v2, s[18:19]
	v_mov_b32_e32 v3, 1.0
	v_mov_b32_e32 v1, s15
	flat_store_dword v[0:1], v3
	s_cbranch_execnz .LBB34_11
.LBB34_10:
	v_mov_b32_e32 v0, s14
	v_mov_b32_e32 v1, s15
	flat_store_dword v[0:1], v2
.LBB34_11:
	s_or_b64 s[16:17], s[16:17], exec
	s_or_b64 exec, exec, s[12:13]
	s_and_saveexec_b64 s[0:1], s[16:17]
	s_cbranch_execnz .LBB34_6
.LBB34_12:
	s_endpgm
.LBB34_13:
	s_mov_b64 s[2:3], 0
	s_and_b64 s[16:17], s[2:3], exec
                                        ; implicit-def: $vgpr1
                                        ; implicit-def: $vgpr0
	s_andn2_saveexec_b64 s[12:13], s[0:1]
	s_cbranch_execz .LBB34_5
	s_branch .LBB34_8
.LBB34_14:
	s_branch .LBB34_10
	.section	.rodata,"a",@progbits
	.p2align	6, 0x0
	.amdhsa_kernel _ZN9rocsolver6v33100L11set_taubetaI19rocblas_complex_numIfEifPKPS3_EEvPT_lS8_T2_llPT1_ll
		.amdhsa_group_segment_fixed_size 0
		.amdhsa_private_segment_fixed_size 0
		.amdhsa_kernarg_size 72
		.amdhsa_user_sgpr_count 6
		.amdhsa_user_sgpr_private_segment_buffer 1
		.amdhsa_user_sgpr_dispatch_ptr 0
		.amdhsa_user_sgpr_queue_ptr 0
		.amdhsa_user_sgpr_kernarg_segment_ptr 1
		.amdhsa_user_sgpr_dispatch_id 0
		.amdhsa_user_sgpr_flat_scratch_init 0
		.amdhsa_user_sgpr_private_segment_size 0
		.amdhsa_uses_dynamic_stack 0
		.amdhsa_system_sgpr_private_segment_wavefront_offset 0
		.amdhsa_system_sgpr_workgroup_id_x 1
		.amdhsa_system_sgpr_workgroup_id_y 0
		.amdhsa_system_sgpr_workgroup_id_z 0
		.amdhsa_system_sgpr_workgroup_info 0
		.amdhsa_system_vgpr_workitem_id 0
		.amdhsa_next_free_vgpr 21
		.amdhsa_next_free_sgpr 24
		.amdhsa_reserve_vcc 1
		.amdhsa_reserve_flat_scratch 0
		.amdhsa_float_round_mode_32 0
		.amdhsa_float_round_mode_16_64 0
		.amdhsa_float_denorm_mode_32 3
		.amdhsa_float_denorm_mode_16_64 3
		.amdhsa_dx10_clamp 1
		.amdhsa_ieee_mode 1
		.amdhsa_fp16_overflow 0
		.amdhsa_exception_fp_ieee_invalid_op 0
		.amdhsa_exception_fp_denorm_src 0
		.amdhsa_exception_fp_ieee_div_zero 0
		.amdhsa_exception_fp_ieee_overflow 0
		.amdhsa_exception_fp_ieee_underflow 0
		.amdhsa_exception_fp_ieee_inexact 0
		.amdhsa_exception_int_div_zero 0
	.end_amdhsa_kernel
	.section	.text._ZN9rocsolver6v33100L11set_taubetaI19rocblas_complex_numIfEifPKPS3_EEvPT_lS8_T2_llPT1_ll,"axG",@progbits,_ZN9rocsolver6v33100L11set_taubetaI19rocblas_complex_numIfEifPKPS3_EEvPT_lS8_T2_llPT1_ll,comdat
.Lfunc_end34:
	.size	_ZN9rocsolver6v33100L11set_taubetaI19rocblas_complex_numIfEifPKPS3_EEvPT_lS8_T2_llPT1_ll, .Lfunc_end34-_ZN9rocsolver6v33100L11set_taubetaI19rocblas_complex_numIfEifPKPS3_EEvPT_lS8_T2_llPT1_ll
                                        ; -- End function
	.set _ZN9rocsolver6v33100L11set_taubetaI19rocblas_complex_numIfEifPKPS3_EEvPT_lS8_T2_llPT1_ll.num_vgpr, 21
	.set _ZN9rocsolver6v33100L11set_taubetaI19rocblas_complex_numIfEifPKPS3_EEvPT_lS8_T2_llPT1_ll.num_agpr, 0
	.set _ZN9rocsolver6v33100L11set_taubetaI19rocblas_complex_numIfEifPKPS3_EEvPT_lS8_T2_llPT1_ll.numbered_sgpr, 24
	.set _ZN9rocsolver6v33100L11set_taubetaI19rocblas_complex_numIfEifPKPS3_EEvPT_lS8_T2_llPT1_ll.num_named_barrier, 0
	.set _ZN9rocsolver6v33100L11set_taubetaI19rocblas_complex_numIfEifPKPS3_EEvPT_lS8_T2_llPT1_ll.private_seg_size, 0
	.set _ZN9rocsolver6v33100L11set_taubetaI19rocblas_complex_numIfEifPKPS3_EEvPT_lS8_T2_llPT1_ll.uses_vcc, 1
	.set _ZN9rocsolver6v33100L11set_taubetaI19rocblas_complex_numIfEifPKPS3_EEvPT_lS8_T2_llPT1_ll.uses_flat_scratch, 0
	.set _ZN9rocsolver6v33100L11set_taubetaI19rocblas_complex_numIfEifPKPS3_EEvPT_lS8_T2_llPT1_ll.has_dyn_sized_stack, 0
	.set _ZN9rocsolver6v33100L11set_taubetaI19rocblas_complex_numIfEifPKPS3_EEvPT_lS8_T2_llPT1_ll.has_recursion, 0
	.set _ZN9rocsolver6v33100L11set_taubetaI19rocblas_complex_numIfEifPKPS3_EEvPT_lS8_T2_llPT1_ll.has_indirect_call, 0
	.section	.AMDGPU.csdata,"",@progbits
; Kernel info:
; codeLenInByte = 984
; TotalNumSgprs: 28
; NumVgprs: 21
; ScratchSize: 0
; MemoryBound: 0
; FloatMode: 240
; IeeeMode: 1
; LDSByteSize: 0 bytes/workgroup (compile time only)
; SGPRBlocks: 3
; VGPRBlocks: 5
; NumSGPRsForWavesPerEU: 28
; NumVGPRsForWavesPerEU: 21
; Occupancy: 10
; WaveLimiterHint : 1
; COMPUTE_PGM_RSRC2:SCRATCH_EN: 0
; COMPUTE_PGM_RSRC2:USER_SGPR: 6
; COMPUTE_PGM_RSRC2:TRAP_HANDLER: 0
; COMPUTE_PGM_RSRC2:TGID_X_EN: 1
; COMPUTE_PGM_RSRC2:TGID_Y_EN: 0
; COMPUTE_PGM_RSRC2:TGID_Z_EN: 0
; COMPUTE_PGM_RSRC2:TIDIG_COMP_CNT: 0
	.section	.text._ZN9rocsolver6v33100L8set_diagI19rocblas_complex_numIfEiS3_PKPS3_TnNSt9enable_ifIXoont18rocblas_is_complexIT_E18rocblas_is_complexIT1_EEiE4typeELi0EEEvPS9_llT2_lT0_lSE_b,"axG",@progbits,_ZN9rocsolver6v33100L8set_diagI19rocblas_complex_numIfEiS3_PKPS3_TnNSt9enable_ifIXoont18rocblas_is_complexIT_E18rocblas_is_complexIT1_EEiE4typeELi0EEEvPS9_llT2_lT0_lSE_b,comdat
	.globl	_ZN9rocsolver6v33100L8set_diagI19rocblas_complex_numIfEiS3_PKPS3_TnNSt9enable_ifIXoont18rocblas_is_complexIT_E18rocblas_is_complexIT1_EEiE4typeELi0EEEvPS9_llT2_lT0_lSE_b ; -- Begin function _ZN9rocsolver6v33100L8set_diagI19rocblas_complex_numIfEiS3_PKPS3_TnNSt9enable_ifIXoont18rocblas_is_complexIT_E18rocblas_is_complexIT1_EEiE4typeELi0EEEvPS9_llT2_lT0_lSE_b
	.p2align	8
	.type	_ZN9rocsolver6v33100L8set_diagI19rocblas_complex_numIfEiS3_PKPS3_TnNSt9enable_ifIXoont18rocblas_is_complexIT_E18rocblas_is_complexIT1_EEiE4typeELi0EEEvPS9_llT2_lT0_lSE_b,@function
_ZN9rocsolver6v33100L8set_diagI19rocblas_complex_numIfEiS3_PKPS3_TnNSt9enable_ifIXoont18rocblas_is_complexIT_E18rocblas_is_complexIT1_EEiE4typeELi0EEEvPS9_llT2_lT0_lSE_b: ; @_ZN9rocsolver6v33100L8set_diagI19rocblas_complex_numIfEiS3_PKPS3_TnNSt9enable_ifIXoont18rocblas_is_complexIT_E18rocblas_is_complexIT1_EEiE4typeELi0EEEvPS9_llT2_lT0_lSE_b
; %bb.0:
	s_load_dword s2, s[4:5], 0x4c
	s_load_dwordx2 s[0:1], s[4:5], 0x38
	s_waitcnt lgkmcnt(0)
	s_lshr_b32 s2, s2, 16
	s_mul_i32 s7, s7, s2
	v_add_u32_e32 v0, s7, v1
	v_cmp_gt_i32_e32 vcc, s0, v0
	s_and_saveexec_b64 s[2:3], vcc
	s_cbranch_execz .LBB35_5
; %bb.1:
	s_load_dwordx8 s[8:15], s[4:5], 0x0
	s_load_dwordx2 s[2:3], s[4:5], 0x20
	s_load_dword s16, s[4:5], 0x28
	s_bitcmp1_b32 s1, 0
	s_cselect_b64 s[0:1], -1, 0
	s_ashr_i32 s7, s6, 31
	s_lshl_b64 s[4:5], s[6:7], 3
	s_waitcnt lgkmcnt(0)
	s_add_u32 s4, s14, s4
	s_addc_u32 s5, s15, s5
	s_load_dwordx2 s[4:5], s[4:5], 0x0
	v_mad_u64_u32 v[1:2], s[14:15], v0, s16, v[0:1]
	s_lshl_b64 s[2:3], s[2:3], 3
	v_ashrrev_i32_e32 v2, 31, v1
	s_waitcnt lgkmcnt(0)
	s_add_u32 s2, s4, s2
	v_lshlrev_b64 v[2:3], 3, v[1:2]
	s_addc_u32 s3, s5, s3
	v_mov_b32_e32 v1, s3
	v_add_co_u32_e32 v2, vcc, s2, v2
	v_addc_co_u32_e32 v3, vcc, v1, v3, vcc
	flat_load_dwordx2 v[4:5], v[2:3]
	s_mul_hi_u32 s3, s12, s6
	s_mul_i32 s4, s12, s7
	s_mul_i32 s5, s13, s6
	s_add_i32 s3, s3, s4
	s_mul_i32 s2, s12, s6
	s_add_i32 s3, s3, s5
	s_lshl_b64 s[2:3], s[2:3], 3
	s_add_u32 s4, s8, s2
	v_ashrrev_i32_e32 v1, 31, v0
	s_addc_u32 s5, s9, s3
	s_lshl_b64 s[2:3], s[10:11], 3
	v_lshlrev_b64 v[0:1], 3, v[0:1]
	s_add_u32 s2, s4, s2
	s_addc_u32 s3, s5, s3
	s_and_b64 vcc, exec, s[0:1]
	v_mov_b32_e32 v6, s3
	v_add_co_u32_e64 v0, s[0:1], s2, v0
	v_addc_co_u32_e64 v1, s[0:1], v6, v1, s[0:1]
	s_waitcnt vmcnt(0) lgkmcnt(0)
	global_store_dwordx2 v[0:1], v[4:5], off
	s_cbranch_vccnz .LBB35_3
; %bb.2:
	flat_load_dwordx2 v[0:1], v[2:3]
	s_branch .LBB35_4
.LBB35_3:
	v_mov_b32_e32 v0, 1.0
	v_mov_b32_e32 v1, 0
.LBB35_4:
	s_waitcnt vmcnt(0) lgkmcnt(0)
	flat_store_dwordx2 v[2:3], v[0:1]
.LBB35_5:
	s_endpgm
	.section	.rodata,"a",@progbits
	.p2align	6, 0x0
	.amdhsa_kernel _ZN9rocsolver6v33100L8set_diagI19rocblas_complex_numIfEiS3_PKPS3_TnNSt9enable_ifIXoont18rocblas_is_complexIT_E18rocblas_is_complexIT1_EEiE4typeELi0EEEvPS9_llT2_lT0_lSE_b
		.amdhsa_group_segment_fixed_size 0
		.amdhsa_private_segment_fixed_size 0
		.amdhsa_kernarg_size 320
		.amdhsa_user_sgpr_count 6
		.amdhsa_user_sgpr_private_segment_buffer 1
		.amdhsa_user_sgpr_dispatch_ptr 0
		.amdhsa_user_sgpr_queue_ptr 0
		.amdhsa_user_sgpr_kernarg_segment_ptr 1
		.amdhsa_user_sgpr_dispatch_id 0
		.amdhsa_user_sgpr_flat_scratch_init 0
		.amdhsa_user_sgpr_private_segment_size 0
		.amdhsa_uses_dynamic_stack 0
		.amdhsa_system_sgpr_private_segment_wavefront_offset 0
		.amdhsa_system_sgpr_workgroup_id_x 1
		.amdhsa_system_sgpr_workgroup_id_y 1
		.amdhsa_system_sgpr_workgroup_id_z 0
		.amdhsa_system_sgpr_workgroup_info 0
		.amdhsa_system_vgpr_workitem_id 1
		.amdhsa_next_free_vgpr 7
		.amdhsa_next_free_sgpr 17
		.amdhsa_reserve_vcc 1
		.amdhsa_reserve_flat_scratch 0
		.amdhsa_float_round_mode_32 0
		.amdhsa_float_round_mode_16_64 0
		.amdhsa_float_denorm_mode_32 3
		.amdhsa_float_denorm_mode_16_64 3
		.amdhsa_dx10_clamp 1
		.amdhsa_ieee_mode 1
		.amdhsa_fp16_overflow 0
		.amdhsa_exception_fp_ieee_invalid_op 0
		.amdhsa_exception_fp_denorm_src 0
		.amdhsa_exception_fp_ieee_div_zero 0
		.amdhsa_exception_fp_ieee_overflow 0
		.amdhsa_exception_fp_ieee_underflow 0
		.amdhsa_exception_fp_ieee_inexact 0
		.amdhsa_exception_int_div_zero 0
	.end_amdhsa_kernel
	.section	.text._ZN9rocsolver6v33100L8set_diagI19rocblas_complex_numIfEiS3_PKPS3_TnNSt9enable_ifIXoont18rocblas_is_complexIT_E18rocblas_is_complexIT1_EEiE4typeELi0EEEvPS9_llT2_lT0_lSE_b,"axG",@progbits,_ZN9rocsolver6v33100L8set_diagI19rocblas_complex_numIfEiS3_PKPS3_TnNSt9enable_ifIXoont18rocblas_is_complexIT_E18rocblas_is_complexIT1_EEiE4typeELi0EEEvPS9_llT2_lT0_lSE_b,comdat
.Lfunc_end35:
	.size	_ZN9rocsolver6v33100L8set_diagI19rocblas_complex_numIfEiS3_PKPS3_TnNSt9enable_ifIXoont18rocblas_is_complexIT_E18rocblas_is_complexIT1_EEiE4typeELi0EEEvPS9_llT2_lT0_lSE_b, .Lfunc_end35-_ZN9rocsolver6v33100L8set_diagI19rocblas_complex_numIfEiS3_PKPS3_TnNSt9enable_ifIXoont18rocblas_is_complexIT_E18rocblas_is_complexIT1_EEiE4typeELi0EEEvPS9_llT2_lT0_lSE_b
                                        ; -- End function
	.set _ZN9rocsolver6v33100L8set_diagI19rocblas_complex_numIfEiS3_PKPS3_TnNSt9enable_ifIXoont18rocblas_is_complexIT_E18rocblas_is_complexIT1_EEiE4typeELi0EEEvPS9_llT2_lT0_lSE_b.num_vgpr, 7
	.set _ZN9rocsolver6v33100L8set_diagI19rocblas_complex_numIfEiS3_PKPS3_TnNSt9enable_ifIXoont18rocblas_is_complexIT_E18rocblas_is_complexIT1_EEiE4typeELi0EEEvPS9_llT2_lT0_lSE_b.num_agpr, 0
	.set _ZN9rocsolver6v33100L8set_diagI19rocblas_complex_numIfEiS3_PKPS3_TnNSt9enable_ifIXoont18rocblas_is_complexIT_E18rocblas_is_complexIT1_EEiE4typeELi0EEEvPS9_llT2_lT0_lSE_b.numbered_sgpr, 17
	.set _ZN9rocsolver6v33100L8set_diagI19rocblas_complex_numIfEiS3_PKPS3_TnNSt9enable_ifIXoont18rocblas_is_complexIT_E18rocblas_is_complexIT1_EEiE4typeELi0EEEvPS9_llT2_lT0_lSE_b.num_named_barrier, 0
	.set _ZN9rocsolver6v33100L8set_diagI19rocblas_complex_numIfEiS3_PKPS3_TnNSt9enable_ifIXoont18rocblas_is_complexIT_E18rocblas_is_complexIT1_EEiE4typeELi0EEEvPS9_llT2_lT0_lSE_b.private_seg_size, 0
	.set _ZN9rocsolver6v33100L8set_diagI19rocblas_complex_numIfEiS3_PKPS3_TnNSt9enable_ifIXoont18rocblas_is_complexIT_E18rocblas_is_complexIT1_EEiE4typeELi0EEEvPS9_llT2_lT0_lSE_b.uses_vcc, 1
	.set _ZN9rocsolver6v33100L8set_diagI19rocblas_complex_numIfEiS3_PKPS3_TnNSt9enable_ifIXoont18rocblas_is_complexIT_E18rocblas_is_complexIT1_EEiE4typeELi0EEEvPS9_llT2_lT0_lSE_b.uses_flat_scratch, 0
	.set _ZN9rocsolver6v33100L8set_diagI19rocblas_complex_numIfEiS3_PKPS3_TnNSt9enable_ifIXoont18rocblas_is_complexIT_E18rocblas_is_complexIT1_EEiE4typeELi0EEEvPS9_llT2_lT0_lSE_b.has_dyn_sized_stack, 0
	.set _ZN9rocsolver6v33100L8set_diagI19rocblas_complex_numIfEiS3_PKPS3_TnNSt9enable_ifIXoont18rocblas_is_complexIT_E18rocblas_is_complexIT1_EEiE4typeELi0EEEvPS9_llT2_lT0_lSE_b.has_recursion, 0
	.set _ZN9rocsolver6v33100L8set_diagI19rocblas_complex_numIfEiS3_PKPS3_TnNSt9enable_ifIXoont18rocblas_is_complexIT_E18rocblas_is_complexIT1_EEiE4typeELi0EEEvPS9_llT2_lT0_lSE_b.has_indirect_call, 0
	.section	.AMDGPU.csdata,"",@progbits
; Kernel info:
; codeLenInByte = 296
; TotalNumSgprs: 21
; NumVgprs: 7
; ScratchSize: 0
; MemoryBound: 0
; FloatMode: 240
; IeeeMode: 1
; LDSByteSize: 0 bytes/workgroup (compile time only)
; SGPRBlocks: 2
; VGPRBlocks: 1
; NumSGPRsForWavesPerEU: 21
; NumVGPRsForWavesPerEU: 7
; Occupancy: 10
; WaveLimiterHint : 1
; COMPUTE_PGM_RSRC2:SCRATCH_EN: 0
; COMPUTE_PGM_RSRC2:USER_SGPR: 6
; COMPUTE_PGM_RSRC2:TRAP_HANDLER: 0
; COMPUTE_PGM_RSRC2:TGID_X_EN: 1
; COMPUTE_PGM_RSRC2:TGID_Y_EN: 1
; COMPUTE_PGM_RSRC2:TGID_Z_EN: 0
; COMPUTE_PGM_RSRC2:TIDIG_COMP_CNT: 1
	.section	.text._ZN9rocsolver6v33100L16larf_left_kernelILi1024E19rocblas_complex_numIfEiPKPS3_EEvT1_S7_T2_lS7_lPKT0_lS8_lS7_l,"axG",@progbits,_ZN9rocsolver6v33100L16larf_left_kernelILi1024E19rocblas_complex_numIfEiPKPS3_EEvT1_S7_T2_lS7_lPKT0_lS8_lS7_l,comdat
	.globl	_ZN9rocsolver6v33100L16larf_left_kernelILi1024E19rocblas_complex_numIfEiPKPS3_EEvT1_S7_T2_lS7_lPKT0_lS8_lS7_l ; -- Begin function _ZN9rocsolver6v33100L16larf_left_kernelILi1024E19rocblas_complex_numIfEiPKPS3_EEvT1_S7_T2_lS7_lPKT0_lS8_lS7_l
	.p2align	8
	.type	_ZN9rocsolver6v33100L16larf_left_kernelILi1024E19rocblas_complex_numIfEiPKPS3_EEvT1_S7_T2_lS7_lPKT0_lS8_lS7_l,@function
_ZN9rocsolver6v33100L16larf_left_kernelILi1024E19rocblas_complex_numIfEiPKPS3_EEvT1_S7_T2_lS7_lPKT0_lS8_lS7_l: ; @_ZN9rocsolver6v33100L16larf_left_kernelILi1024E19rocblas_complex_numIfEiPKPS3_EEvT1_S7_T2_lS7_lPKT0_lS8_lS7_l
; %bb.0:
	s_load_dwordx8 s[12:19], s[4:5], 0x28
	s_load_dword s22, s[4:5], 0x0
	s_load_dword s6, s[4:5], 0x48
	s_ashr_i32 s9, s8, 31
	s_lshl_b64 s[20:21], s[8:9], 3
	s_waitcnt lgkmcnt(0)
	s_add_u32 s0, s16, s20
	s_addc_u32 s1, s17, s21
	s_load_dwordx2 s[2:3], s[0:1], 0x0
	v_cmp_gt_i32_e64 s[0:1], s22, v0
	v_mov_b32_e32 v4, 0
	s_mul_hi_i32 s11, s7, s6
	s_mul_i32 s10, s7, s6
	v_mov_b32_e32 v5, 0
	s_and_saveexec_b64 s[6:7], s[0:1]
	s_cbranch_execz .LBB36_6
; %bb.1:
	s_load_dword s16, s[4:5], 0x18
	s_load_dwordx4 s[24:27], s[4:5], 0x8
	s_sub_i32 s4, 1, s22
	v_lshl_add_u32 v3, v0, 3, 0
	v_add_u32_e32 v3, 0x80, v3
	s_waitcnt lgkmcnt(0)
	s_ashr_i32 s17, s16, 31
	s_mul_i32 s23, s16, s4
	v_cmp_lt_i64_e64 s[4:5], s[16:17], 1
	v_mad_i64_i32 v[1:2], s[28:29], s16, v0, 0
	s_and_b64 s[4:5], s[4:5], exec
	s_cselect_b32 s4, s23, 0
	s_ashr_i32 s5, s4, 31
	s_add_u32 s20, s24, s20
	s_addc_u32 s21, s25, s21
	s_load_dwordx2 s[20:21], s[20:21], 0x0
	s_lshl_b64 s[24:25], s[26:27], 3
	s_lshl_b64 s[4:5], s[4:5], 3
	v_lshlrev_b64 v[1:2], 3, v[1:2]
	v_mov_b32_e32 v5, v3
	s_waitcnt lgkmcnt(0)
	s_add_u32 s4, s20, s4
	s_addc_u32 s5, s21, s5
	s_add_u32 s4, s4, s24
	s_addc_u32 s5, s5, s25
	v_mov_b32_e32 v4, s5
	v_add_co_u32_e32 v1, vcc, s4, v1
	s_lshl_b64 s[16:17], s[16:17], 13
	v_addc_co_u32_e32 v2, vcc, v4, v2, vcc
	s_mov_b64 s[4:5], 0
	v_mov_b32_e32 v4, s17
	v_mov_b32_e32 v6, v0
.LBB36_2:                               ; =>This Inner Loop Header: Depth=1
	flat_load_dwordx2 v[7:8], v[1:2]
	v_add_co_u32_e32 v1, vcc, s16, v1
	v_add_u32_e32 v6, 0x400, v6
	v_addc_co_u32_e32 v2, vcc, v2, v4, vcc
	v_cmp_le_i32_e32 vcc, s22, v6
	s_or_b64 s[4:5], vcc, s[4:5]
	s_waitcnt vmcnt(0) lgkmcnt(0)
	ds_write_b64 v5, v[7:8]
	v_add_u32_e32 v5, 0x2000, v5
	s_andn2_b64 exec, exec, s[4:5]
	s_cbranch_execnz .LBB36_2
; %bb.3:
	s_or_b64 exec, exec, s[4:5]
	s_lshl_b64 s[4:5], s[10:11], 3
	s_lshl_b64 s[16:17], s[18:19], 3
	s_add_u32 s4, s4, s16
	s_addc_u32 s5, s5, s17
	s_add_u32 s4, s2, s4
	v_lshlrev_b32_e32 v1, 3, v0
	s_addc_u32 s5, s3, s5
	v_mov_b32_e32 v2, s5
	v_add_co_u32_e32 v1, vcc, s4, v1
	v_mov_b32_e32 v4, 0
	v_addc_co_u32_e32 v2, vcc, 0, v2, vcc
	s_mov_b64 s[4:5], 0
	v_mov_b32_e32 v6, v0
	v_mov_b32_e32 v5, 0
.LBB36_4:                               ; =>This Inner Loop Header: Depth=1
	flat_load_dwordx2 v[7:8], v[1:2]
	ds_read_b64 v[9:10], v3
	v_add_co_u32_e32 v1, vcc, 0x2000, v1
	v_add_u32_e32 v6, 0x400, v6
	v_addc_co_u32_e32 v2, vcc, 0, v2, vcc
	v_cmp_le_i32_e32 vcc, s22, v6
	v_add_u32_e32 v3, 0x2000, v3
	s_or_b64 s[4:5], vcc, s[4:5]
	s_waitcnt vmcnt(0) lgkmcnt(0)
	v_mul_f32_e32 v11, v8, v10
	v_mul_f32_e32 v8, v8, v9
	v_fmac_f32_e32 v11, v7, v9
	v_fma_f32 v7, v7, v10, -v8
	v_add_f32_e32 v5, v5, v11
	v_add_f32_e32 v4, v4, v7
	s_andn2_b64 exec, exec, s[4:5]
	s_cbranch_execnz .LBB36_4
; %bb.5:
	s_or_b64 exec, exec, s[4:5]
.LBB36_6:
	s_or_b64 exec, exec, s[6:7]
	v_mbcnt_lo_u32_b32 v1, -1, 0
	v_mbcnt_hi_u32_b32 v1, -1, v1
	v_and_b32_e32 v2, 63, v1
	v_cmp_ne_u32_e32 vcc, 63, v2
	v_addc_co_u32_e32 v3, vcc, 0, v1, vcc
	v_lshlrev_b32_e32 v3, 2, v3
	ds_bpermute_b32 v6, v3, v5
	ds_bpermute_b32 v3, v3, v4
	v_cmp_gt_u32_e32 vcc, 62, v2
	s_waitcnt lgkmcnt(0)
	v_add_f32_e32 v5, v5, v6
	v_add_f32_e32 v3, v4, v3
	v_cndmask_b32_e64 v4, 0, 2, vcc
	v_add_lshl_u32 v4, v4, v1, 2
	ds_bpermute_b32 v6, v4, v5
	ds_bpermute_b32 v4, v4, v3
	v_cmp_gt_u32_e32 vcc, 60, v2
	s_waitcnt lgkmcnt(1)
	v_add_f32_e32 v5, v5, v6
	s_waitcnt lgkmcnt(0)
	v_add_f32_e32 v3, v3, v4
	v_cndmask_b32_e64 v4, 0, 4, vcc
	v_add_lshl_u32 v4, v4, v1, 2
	ds_bpermute_b32 v6, v4, v5
	ds_bpermute_b32 v4, v4, v3
	v_cmp_gt_u32_e32 vcc, 56, v2
	s_waitcnt lgkmcnt(1)
	v_add_f32_e32 v5, v5, v6
	s_waitcnt lgkmcnt(0)
	v_add_f32_e32 v3, v3, v4
	v_cndmask_b32_e64 v4, 0, 8, vcc
	v_add_lshl_u32 v4, v4, v1, 2
	ds_bpermute_b32 v6, v4, v5
	ds_bpermute_b32 v4, v4, v3
	v_cmp_gt_u32_e32 vcc, 48, v2
	v_cndmask_b32_e64 v2, 0, 16, vcc
	v_add_lshl_u32 v2, v2, v1, 2
	s_waitcnt lgkmcnt(1)
	v_add_f32_e32 v5, v5, v6
	s_waitcnt lgkmcnt(0)
	v_add_f32_e32 v3, v3, v4
	ds_bpermute_b32 v4, v2, v5
	ds_bpermute_b32 v2, v2, v3
	s_waitcnt lgkmcnt(1)
	v_add_f32_e32 v4, v5, v4
	s_waitcnt lgkmcnt(0)
	v_add_f32_e32 v2, v3, v2
	v_mov_b32_e32 v3, 0x80
	v_lshl_or_b32 v1, v1, 2, v3
	ds_bpermute_b32 v3, v1, v4
	ds_bpermute_b32 v5, v1, v2
	s_waitcnt lgkmcnt(1)
	v_add_f32_e32 v1, v4, v3
	v_and_b32_e32 v3, 63, v0
	s_waitcnt lgkmcnt(0)
	v_add_f32_e32 v2, v2, v5
	v_cmp_eq_u32_e32 vcc, 0, v3
	s_and_saveexec_b64 s[4:5], vcc
; %bb.7:
	v_lshrrev_b32_e32 v3, 3, v0
	v_add_u32_e32 v3, 0, v3
	ds_write2_b32 v3, v1, v2 offset1:1
; %bb.8:
	s_or_b64 exec, exec, s[4:5]
	v_cmp_eq_u32_e32 vcc, 0, v0
	s_waitcnt lgkmcnt(0)
	s_barrier
	s_and_saveexec_b64 s[4:5], vcc
	s_cbranch_execz .LBB36_10
; %bb.9:
	v_mov_b32_e32 v15, 0
	ds_read2_b64 v[3:6], v15 offset0:1 offset1:2
	ds_read2_b64 v[7:10], v15 offset0:3 offset1:4
	;; [unrolled: 1-line block ×3, first 2 shown]
	s_waitcnt lgkmcnt(2)
	v_add_f32_e32 v1, v1, v3
	v_add_f32_e32 v2, v2, v4
	v_add_f32_e32 v1, v1, v5
	v_add_f32_e32 v2, v2, v6
	s_waitcnt lgkmcnt(1)
	v_add_f32_e32 v1, v1, v7
	v_add_f32_e32 v2, v2, v8
	;; [unrolled: 1-line block ×4, first 2 shown]
	ds_read2_b64 v[1:4], v15 offset0:7 offset1:8
	s_waitcnt lgkmcnt(1)
	v_add_f32_e32 v5, v5, v11
	v_add_f32_e32 v6, v6, v12
	;; [unrolled: 1-line block ×4, first 2 shown]
	s_waitcnt lgkmcnt(0)
	v_add_f32_e32 v1, v5, v1
	ds_read2_b64 v[5:8], v15 offset0:9 offset1:10
	v_add_f32_e32 v2, v9, v2
	v_add_f32_e32 v9, v1, v3
	v_add_f32_e32 v10, v2, v4
	ds_read2_b64 v[1:4], v15 offset0:11 offset1:12
	s_waitcnt lgkmcnt(1)
	v_add_f32_e32 v5, v9, v5
	v_add_f32_e32 v6, v10, v6
	;; [unrolled: 1-line block ×4, first 2 shown]
	s_waitcnt lgkmcnt(0)
	v_add_f32_e32 v1, v5, v1
	ds_read2_b64 v[5:8], v15 offset0:13 offset1:14
	v_add_f32_e32 v2, v9, v2
	v_add_f32_e32 v3, v1, v3
	;; [unrolled: 1-line block ×3, first 2 shown]
	ds_read_b64 v[1:2], v15 offset:120
	s_waitcnt lgkmcnt(1)
	v_add_f32_e32 v3, v3, v5
	v_add_f32_e32 v4, v4, v6
	;; [unrolled: 1-line block ×4, first 2 shown]
	s_waitcnt lgkmcnt(0)
	v_add_f32_e32 v1, v3, v1
	v_add_f32_e32 v2, v4, v2
	ds_write_b64 v15, v[1:2]
.LBB36_10:
	s_or_b64 exec, exec, s[4:5]
	s_waitcnt lgkmcnt(0)
	s_barrier
	s_and_saveexec_b64 s[4:5], s[0:1]
	s_cbranch_execz .LBB36_13
; %bb.11:
	s_mul_i32 s0, s14, s9
	s_mul_hi_u32 s1, s14, s8
	s_add_i32 s0, s1, s0
	s_mul_i32 s1, s15, s8
	s_add_i32 s1, s0, s1
	s_mul_i32 s0, s14, s8
	s_lshl_b64 s[0:1], s[0:1], 3
	s_add_u32 s0, s12, s0
	s_addc_u32 s1, s13, s1
	v_mov_b32_e32 v1, 0
	s_load_dwordx2 s[4:5], s[0:1], 0x0
	ds_read_b64 v[1:2], v1
	s_lshl_b64 s[0:1], s[10:11], 3
	s_waitcnt lgkmcnt(0)
	v_mul_f32_e32 v3, s5, v2
	v_fma_f32 v3, v1, -s4, -v3
	v_mul_f32_e32 v1, s5, v1
	v_fma_f32 v4, s4, v2, -v1
	s_lshl_b64 s[4:5], s[18:19], 3
	s_add_u32 s0, s0, s4
	s_addc_u32 s1, s1, s5
	v_lshlrev_b32_e32 v1, 3, v0
	s_add_u32 s0, s2, s0
	v_add_u32_e32 v2, 0, v1
	s_addc_u32 s1, s3, s1
	v_add_u32_e32 v5, 0x80, v2
	v_mov_b32_e32 v2, s1
	v_add_co_u32_e32 v1, vcc, s0, v1
	v_addc_co_u32_e32 v2, vcc, 0, v2, vcc
	s_mov_b64 s[0:1], 0
.LBB36_12:                              ; =>This Inner Loop Header: Depth=1
	flat_load_dwordx2 v[6:7], v[1:2]
	ds_read_b64 v[8:9], v5
	v_add_u32_e32 v0, 0x400, v0
	v_cmp_le_i32_e32 vcc, s22, v0
	s_or_b64 s[0:1], vcc, s[0:1]
	v_add_u32_e32 v5, 0x2000, v5
	s_waitcnt lgkmcnt(0)
	v_mul_f32_e32 v10, v4, v9
	v_mul_f32_e32 v9, v3, v9
	v_fma_f32 v10, v3, v8, -v10
	v_fmac_f32_e32 v9, v4, v8
	s_waitcnt vmcnt(0)
	v_add_f32_e32 v6, v6, v10
	v_add_f32_e32 v7, v9, v7
	flat_store_dwordx2 v[1:2], v[6:7]
	v_add_co_u32_e32 v1, vcc, 0x2000, v1
	v_addc_co_u32_e32 v2, vcc, 0, v2, vcc
	s_andn2_b64 exec, exec, s[0:1]
	s_cbranch_execnz .LBB36_12
.LBB36_13:
	s_endpgm
	.section	.rodata,"a",@progbits
	.p2align	6, 0x0
	.amdhsa_kernel _ZN9rocsolver6v33100L16larf_left_kernelILi1024E19rocblas_complex_numIfEiPKPS3_EEvT1_S7_T2_lS7_lPKT0_lS8_lS7_l
		.amdhsa_group_segment_fixed_size 0
		.amdhsa_private_segment_fixed_size 0
		.amdhsa_kernarg_size 88
		.amdhsa_user_sgpr_count 6
		.amdhsa_user_sgpr_private_segment_buffer 1
		.amdhsa_user_sgpr_dispatch_ptr 0
		.amdhsa_user_sgpr_queue_ptr 0
		.amdhsa_user_sgpr_kernarg_segment_ptr 1
		.amdhsa_user_sgpr_dispatch_id 0
		.amdhsa_user_sgpr_flat_scratch_init 0
		.amdhsa_user_sgpr_private_segment_size 0
		.amdhsa_uses_dynamic_stack 0
		.amdhsa_system_sgpr_private_segment_wavefront_offset 0
		.amdhsa_system_sgpr_workgroup_id_x 1
		.amdhsa_system_sgpr_workgroup_id_y 1
		.amdhsa_system_sgpr_workgroup_id_z 1
		.amdhsa_system_sgpr_workgroup_info 0
		.amdhsa_system_vgpr_workitem_id 0
		.amdhsa_next_free_vgpr 16
		.amdhsa_next_free_sgpr 30
		.amdhsa_reserve_vcc 1
		.amdhsa_reserve_flat_scratch 0
		.amdhsa_float_round_mode_32 0
		.amdhsa_float_round_mode_16_64 0
		.amdhsa_float_denorm_mode_32 3
		.amdhsa_float_denorm_mode_16_64 3
		.amdhsa_dx10_clamp 1
		.amdhsa_ieee_mode 1
		.amdhsa_fp16_overflow 0
		.amdhsa_exception_fp_ieee_invalid_op 0
		.amdhsa_exception_fp_denorm_src 0
		.amdhsa_exception_fp_ieee_div_zero 0
		.amdhsa_exception_fp_ieee_overflow 0
		.amdhsa_exception_fp_ieee_underflow 0
		.amdhsa_exception_fp_ieee_inexact 0
		.amdhsa_exception_int_div_zero 0
	.end_amdhsa_kernel
	.section	.text._ZN9rocsolver6v33100L16larf_left_kernelILi1024E19rocblas_complex_numIfEiPKPS3_EEvT1_S7_T2_lS7_lPKT0_lS8_lS7_l,"axG",@progbits,_ZN9rocsolver6v33100L16larf_left_kernelILi1024E19rocblas_complex_numIfEiPKPS3_EEvT1_S7_T2_lS7_lPKT0_lS8_lS7_l,comdat
.Lfunc_end36:
	.size	_ZN9rocsolver6v33100L16larf_left_kernelILi1024E19rocblas_complex_numIfEiPKPS3_EEvT1_S7_T2_lS7_lPKT0_lS8_lS7_l, .Lfunc_end36-_ZN9rocsolver6v33100L16larf_left_kernelILi1024E19rocblas_complex_numIfEiPKPS3_EEvT1_S7_T2_lS7_lPKT0_lS8_lS7_l
                                        ; -- End function
	.set _ZN9rocsolver6v33100L16larf_left_kernelILi1024E19rocblas_complex_numIfEiPKPS3_EEvT1_S7_T2_lS7_lPKT0_lS8_lS7_l.num_vgpr, 16
	.set _ZN9rocsolver6v33100L16larf_left_kernelILi1024E19rocblas_complex_numIfEiPKPS3_EEvT1_S7_T2_lS7_lPKT0_lS8_lS7_l.num_agpr, 0
	.set _ZN9rocsolver6v33100L16larf_left_kernelILi1024E19rocblas_complex_numIfEiPKPS3_EEvT1_S7_T2_lS7_lPKT0_lS8_lS7_l.numbered_sgpr, 30
	.set _ZN9rocsolver6v33100L16larf_left_kernelILi1024E19rocblas_complex_numIfEiPKPS3_EEvT1_S7_T2_lS7_lPKT0_lS8_lS7_l.num_named_barrier, 0
	.set _ZN9rocsolver6v33100L16larf_left_kernelILi1024E19rocblas_complex_numIfEiPKPS3_EEvT1_S7_T2_lS7_lPKT0_lS8_lS7_l.private_seg_size, 0
	.set _ZN9rocsolver6v33100L16larf_left_kernelILi1024E19rocblas_complex_numIfEiPKPS3_EEvT1_S7_T2_lS7_lPKT0_lS8_lS7_l.uses_vcc, 1
	.set _ZN9rocsolver6v33100L16larf_left_kernelILi1024E19rocblas_complex_numIfEiPKPS3_EEvT1_S7_T2_lS7_lPKT0_lS8_lS7_l.uses_flat_scratch, 0
	.set _ZN9rocsolver6v33100L16larf_left_kernelILi1024E19rocblas_complex_numIfEiPKPS3_EEvT1_S7_T2_lS7_lPKT0_lS8_lS7_l.has_dyn_sized_stack, 0
	.set _ZN9rocsolver6v33100L16larf_left_kernelILi1024E19rocblas_complex_numIfEiPKPS3_EEvT1_S7_T2_lS7_lPKT0_lS8_lS7_l.has_recursion, 0
	.set _ZN9rocsolver6v33100L16larf_left_kernelILi1024E19rocblas_complex_numIfEiPKPS3_EEvT1_S7_T2_lS7_lPKT0_lS8_lS7_l.has_indirect_call, 0
	.section	.AMDGPU.csdata,"",@progbits
; Kernel info:
; codeLenInByte = 1328
; TotalNumSgprs: 34
; NumVgprs: 16
; ScratchSize: 0
; MemoryBound: 0
; FloatMode: 240
; IeeeMode: 1
; LDSByteSize: 0 bytes/workgroup (compile time only)
; SGPRBlocks: 4
; VGPRBlocks: 3
; NumSGPRsForWavesPerEU: 34
; NumVGPRsForWavesPerEU: 16
; Occupancy: 10
; WaveLimiterHint : 0
; COMPUTE_PGM_RSRC2:SCRATCH_EN: 0
; COMPUTE_PGM_RSRC2:USER_SGPR: 6
; COMPUTE_PGM_RSRC2:TRAP_HANDLER: 0
; COMPUTE_PGM_RSRC2:TGID_X_EN: 1
; COMPUTE_PGM_RSRC2:TGID_Y_EN: 1
; COMPUTE_PGM_RSRC2:TGID_Z_EN: 1
; COMPUTE_PGM_RSRC2:TIDIG_COMP_CNT: 0
	.section	.text._ZN9rocsolver6v33100L17larf_right_kernelILi1024E19rocblas_complex_numIfEiPKPS3_EEvT1_S7_T2_lS7_lPKT0_lS8_lS7_l,"axG",@progbits,_ZN9rocsolver6v33100L17larf_right_kernelILi1024E19rocblas_complex_numIfEiPKPS3_EEvT1_S7_T2_lS7_lPKT0_lS8_lS7_l,comdat
	.globl	_ZN9rocsolver6v33100L17larf_right_kernelILi1024E19rocblas_complex_numIfEiPKPS3_EEvT1_S7_T2_lS7_lPKT0_lS8_lS7_l ; -- Begin function _ZN9rocsolver6v33100L17larf_right_kernelILi1024E19rocblas_complex_numIfEiPKPS3_EEvT1_S7_T2_lS7_lPKT0_lS8_lS7_l
	.p2align	8
	.type	_ZN9rocsolver6v33100L17larf_right_kernelILi1024E19rocblas_complex_numIfEiPKPS3_EEvT1_S7_T2_lS7_lPKT0_lS8_lS7_l,@function
_ZN9rocsolver6v33100L17larf_right_kernelILi1024E19rocblas_complex_numIfEiPKPS3_EEvT1_S7_T2_lS7_lPKT0_lS8_lS7_l: ; @_ZN9rocsolver6v33100L17larf_right_kernelILi1024E19rocblas_complex_numIfEiPKPS3_EEvT1_S7_T2_lS7_lPKT0_lS8_lS7_l
; %bb.0:
	s_load_dwordx8 s[12:19], s[4:5], 0x28
	s_load_dword s22, s[4:5], 0x4
	s_load_dword s2, s[4:5], 0x48
	s_ashr_i32 s9, s8, 31
	s_lshl_b64 s[0:1], s[8:9], 3
	s_waitcnt lgkmcnt(0)
	s_add_u32 s10, s16, s0
	s_addc_u32 s11, s17, s1
	s_load_dwordx2 s[10:11], s[10:11], 0x0
	s_mov_b32 s6, s7
	s_ashr_i32 s7, s7, 31
	v_cmp_gt_i32_e32 vcc, s22, v0
	v_mov_b32_e32 v5, 0
	v_lshl_add_u32 v3, v0, 3, 0
	v_mov_b32_e32 v6, 0
	s_and_saveexec_b64 s[16:17], vcc
	s_cbranch_execz .LBB37_6
; %bb.1:
	s_load_dword s20, s[4:5], 0x18
	s_load_dwordx4 s[24:27], s[4:5], 0x8
	s_sub_i32 s3, 1, s22
	v_add_u32_e32 v4, 0x80, v3
	v_mov_b32_e32 v6, v4
	s_waitcnt lgkmcnt(0)
	s_ashr_i32 s21, s20, 31
	v_cmp_lt_i64_e64 s[4:5], s[20:21], 1
	s_mul_i32 s3, s20, s3
	s_and_b64 s[4:5], s[4:5], exec
	s_cselect_b32 s4, s3, 0
	s_ashr_i32 s5, s4, 31
	s_add_u32 s0, s24, s0
	s_addc_u32 s1, s25, s1
	s_load_dwordx2 s[0:1], s[0:1], 0x0
	v_mad_i64_i32 v[1:2], s[28:29], s20, v0, 0
	s_lshl_b64 s[24:25], s[26:27], 3
	s_lshl_b64 s[4:5], s[4:5], 3
	s_waitcnt lgkmcnt(0)
	s_add_u32 s0, s0, s4
	s_addc_u32 s1, s1, s5
	v_lshlrev_b64 v[1:2], 3, v[1:2]
	s_add_u32 s0, s0, s24
	s_addc_u32 s1, s1, s25
	v_mov_b32_e32 v5, s1
	v_add_co_u32_e64 v1, s[0:1], s0, v1
	s_lshl_b64 s[20:21], s[20:21], 13
	v_addc_co_u32_e64 v2, s[0:1], v5, v2, s[0:1]
	s_mov_b64 s[4:5], 0
	v_mov_b32_e32 v5, s21
	v_mov_b32_e32 v7, v0
.LBB37_2:                               ; =>This Inner Loop Header: Depth=1
	flat_load_dwordx2 v[8:9], v[1:2]
	v_add_co_u32_e64 v1, s[0:1], s20, v1
	v_add_u32_e32 v7, 0x400, v7
	v_addc_co_u32_e64 v2, s[0:1], v2, v5, s[0:1]
	v_cmp_le_i32_e64 s[0:1], s22, v7
	s_or_b64 s[4:5], s[0:1], s[4:5]
	s_waitcnt vmcnt(0) lgkmcnt(0)
	ds_write_b64 v6, v[8:9]
	v_add_u32_e32 v6, 0x2000, v6
	s_andn2_b64 exec, exec, s[4:5]
	s_cbranch_execnz .LBB37_2
; %bb.3:
	s_or_b64 exec, exec, s[4:5]
	v_mad_i64_i32 v[1:2], s[0:1], s2, v0, 0
	s_ashr_i32 s3, s2, 31
	s_lshl_b64 s[0:1], s[18:19], 3
	s_lshl_b64 s[4:5], s[6:7], 3
	s_add_u32 s4, s10, s4
	s_addc_u32 s5, s11, s5
	v_lshlrev_b64 v[1:2], 3, v[1:2]
	s_add_u32 s0, s4, s0
	s_addc_u32 s1, s5, s1
	v_mov_b32_e32 v5, s1
	v_add_co_u32_e64 v1, s[0:1], s0, v1
	s_lshl_b64 s[4:5], s[2:3], 13
	v_addc_co_u32_e64 v2, s[0:1], v5, v2, s[0:1]
	v_mov_b32_e32 v5, 0
	s_mov_b64 s[20:21], 0
	v_mov_b32_e32 v7, s5
	v_mov_b32_e32 v8, v0
	;; [unrolled: 1-line block ×3, first 2 shown]
.LBB37_4:                               ; =>This Inner Loop Header: Depth=1
	flat_load_dwordx2 v[9:10], v[1:2]
	ds_read_b64 v[11:12], v4
	v_add_co_u32_e64 v1, s[0:1], s4, v1
	v_add_u32_e32 v8, 0x400, v8
	v_addc_co_u32_e64 v2, s[0:1], v2, v7, s[0:1]
	v_cmp_le_i32_e64 s[0:1], s22, v8
	v_add_u32_e32 v4, 0x2000, v4
	s_or_b64 s[20:21], s[0:1], s[20:21]
	s_waitcnt vmcnt(0) lgkmcnt(0)
	v_mul_f32_e32 v13, v12, v10
	v_mul_f32_e32 v10, v11, v10
	v_fma_f32 v11, v11, v9, -v13
	v_fmac_f32_e32 v10, v12, v9
	v_add_f32_e32 v6, v6, v11
	v_add_f32_e32 v5, v5, v10
	s_andn2_b64 exec, exec, s[20:21]
	s_cbranch_execnz .LBB37_4
; %bb.5:
	s_or_b64 exec, exec, s[20:21]
.LBB37_6:
	s_or_b64 exec, exec, s[16:17]
	v_mbcnt_lo_u32_b32 v1, -1, 0
	v_mbcnt_hi_u32_b32 v1, -1, v1
	v_and_b32_e32 v2, 63, v1
	v_cmp_ne_u32_e64 s[0:1], 63, v2
	v_addc_co_u32_e64 v4, s[0:1], 0, v1, s[0:1]
	v_lshlrev_b32_e32 v4, 2, v4
	ds_bpermute_b32 v7, v4, v6
	ds_bpermute_b32 v4, v4, v5
	v_cmp_gt_u32_e64 s[0:1], 62, v2
	s_waitcnt lgkmcnt(0)
	v_add_f32_e32 v6, v6, v7
	v_add_f32_e32 v4, v5, v4
	v_cndmask_b32_e64 v5, 0, 2, s[0:1]
	v_add_lshl_u32 v5, v5, v1, 2
	ds_bpermute_b32 v7, v5, v6
	ds_bpermute_b32 v5, v5, v4
	v_cmp_gt_u32_e64 s[0:1], 60, v2
	s_waitcnt lgkmcnt(1)
	v_add_f32_e32 v6, v6, v7
	s_waitcnt lgkmcnt(0)
	v_add_f32_e32 v4, v4, v5
	v_cndmask_b32_e64 v5, 0, 4, s[0:1]
	v_add_lshl_u32 v5, v5, v1, 2
	ds_bpermute_b32 v7, v5, v6
	ds_bpermute_b32 v5, v5, v4
	v_cmp_gt_u32_e64 s[0:1], 56, v2
	s_waitcnt lgkmcnt(1)
	v_add_f32_e32 v6, v6, v7
	s_waitcnt lgkmcnt(0)
	v_add_f32_e32 v4, v4, v5
	v_cndmask_b32_e64 v5, 0, 8, s[0:1]
	v_add_lshl_u32 v5, v5, v1, 2
	ds_bpermute_b32 v7, v5, v6
	ds_bpermute_b32 v5, v5, v4
	v_cmp_gt_u32_e64 s[0:1], 48, v2
	v_cndmask_b32_e64 v2, 0, 16, s[0:1]
	v_add_lshl_u32 v2, v2, v1, 2
	s_waitcnt lgkmcnt(1)
	v_add_f32_e32 v6, v6, v7
	s_waitcnt lgkmcnt(0)
	v_add_f32_e32 v4, v4, v5
	ds_bpermute_b32 v5, v2, v6
	ds_bpermute_b32 v2, v2, v4
	s_waitcnt lgkmcnt(1)
	v_add_f32_e32 v5, v6, v5
	s_waitcnt lgkmcnt(0)
	v_add_f32_e32 v2, v4, v2
	v_mov_b32_e32 v4, 0x80
	v_lshl_or_b32 v1, v1, 2, v4
	ds_bpermute_b32 v4, v1, v5
	ds_bpermute_b32 v6, v1, v2
	s_waitcnt lgkmcnt(1)
	v_add_f32_e32 v1, v5, v4
	v_and_b32_e32 v4, 63, v0
	s_waitcnt lgkmcnt(0)
	v_add_f32_e32 v2, v2, v6
	v_cmp_eq_u32_e64 s[0:1], 0, v4
	s_and_saveexec_b64 s[4:5], s[0:1]
; %bb.7:
	v_lshrrev_b32_e32 v4, 3, v0
	v_add_u32_e32 v4, 0, v4
	ds_write2_b32 v4, v1, v2 offset1:1
; %bb.8:
	s_or_b64 exec, exec, s[4:5]
	v_cmp_eq_u32_e64 s[0:1], 0, v0
	s_waitcnt lgkmcnt(0)
	s_barrier
	s_and_saveexec_b64 s[4:5], s[0:1]
	s_cbranch_execz .LBB37_10
; %bb.9:
	v_mov_b32_e32 v16, 0
	ds_read2_b64 v[4:7], v16 offset0:1 offset1:2
	ds_read2_b64 v[8:11], v16 offset0:3 offset1:4
	;; [unrolled: 1-line block ×3, first 2 shown]
	s_waitcnt lgkmcnt(2)
	v_add_f32_e32 v1, v1, v4
	v_add_f32_e32 v2, v2, v5
	;; [unrolled: 1-line block ×4, first 2 shown]
	ds_read2_b64 v[4:7], v16 offset0:7 offset1:8
	s_waitcnt lgkmcnt(2)
	v_add_f32_e32 v1, v1, v8
	v_add_f32_e32 v2, v2, v9
	;; [unrolled: 1-line block ×4, first 2 shown]
	s_waitcnt lgkmcnt(1)
	v_add_f32_e32 v1, v1, v12
	v_add_f32_e32 v2, v2, v13
	v_add_f32_e32 v1, v1, v14
	v_add_f32_e32 v2, v2, v15
	ds_read2_b64 v[8:11], v16 offset0:9 offset1:10
	s_waitcnt lgkmcnt(1)
	v_add_f32_e32 v1, v1, v4
	v_add_f32_e32 v2, v2, v5
	v_add_f32_e32 v1, v1, v6
	v_add_f32_e32 v2, v2, v7
	ds_read2_b64 v[4:7], v16 offset0:11 offset1:12
	;; [unrolled: 6-line block ×3, first 2 shown]
	s_waitcnt lgkmcnt(1)
	v_add_f32_e32 v1, v1, v4
	v_add_f32_e32 v2, v2, v5
	v_add_f32_e32 v4, v1, v6
	v_add_f32_e32 v5, v2, v7
	ds_read_b64 v[1:2], v16 offset:120
	s_waitcnt lgkmcnt(1)
	v_add_f32_e32 v4, v4, v8
	v_add_f32_e32 v5, v5, v9
	;; [unrolled: 1-line block ×4, first 2 shown]
	s_waitcnt lgkmcnt(0)
	v_add_f32_e32 v1, v4, v1
	v_add_f32_e32 v2, v5, v2
	ds_write_b64 v16, v[1:2]
.LBB37_10:
	s_or_b64 exec, exec, s[4:5]
	s_waitcnt lgkmcnt(0)
	s_barrier
	s_and_saveexec_b64 s[0:1], vcc
	s_cbranch_execz .LBB37_13
; %bb.11:
	s_mul_i32 s0, s14, s9
	s_mul_hi_u32 s1, s14, s8
	s_add_i32 s0, s1, s0
	s_mul_i32 s1, s15, s8
	s_add_i32 s1, s0, s1
	s_mul_i32 s0, s14, s8
	s_lshl_b64 s[0:1], s[0:1], 3
	s_add_u32 s0, s12, s0
	s_addc_u32 s1, s13, s1
	v_mov_b32_e32 v1, 0
	s_load_dwordx2 s[4:5], s[0:1], 0x0
	ds_read_b64 v[1:2], v1
	v_mad_i64_i32 v[6:7], s[0:1], s2, v0, 0
	s_ashr_i32 s3, s2, 31
	s_lshl_b64 s[0:1], s[18:19], 3
	s_waitcnt lgkmcnt(0)
	v_mul_f32_e32 v4, s4, v1
	v_fma_f32 v4, s5, v2, -v4
	v_mul_f32_e32 v2, s4, v2
	v_fma_f32 v5, v1, -s5, -v2
	s_lshl_b64 s[4:5], s[6:7], 3
	s_add_u32 s4, s10, s4
	s_addc_u32 s5, s11, s5
	v_lshlrev_b64 v[1:2], 3, v[6:7]
	s_add_u32 s0, s4, s0
	s_addc_u32 s1, s5, s1
	v_mov_b32_e32 v6, s1
	v_add_co_u32_e32 v1, vcc, s0, v1
	s_lshl_b64 s[0:1], s[2:3], 13
	v_add_u32_e32 v3, 0x80, v3
	v_addc_co_u32_e32 v2, vcc, v6, v2, vcc
	s_mov_b64 s[2:3], 0
	v_mov_b32_e32 v6, s1
.LBB37_12:                              ; =>This Inner Loop Header: Depth=1
	flat_load_dwordx2 v[7:8], v[1:2]
	ds_read_b64 v[9:10], v3
	v_add_u32_e32 v0, 0x400, v0
	v_cmp_le_i32_e32 vcc, s22, v0
	s_or_b64 s[2:3], vcc, s[2:3]
	v_add_u32_e32 v3, 0x2000, v3
	s_waitcnt lgkmcnt(0)
	v_mul_f32_e32 v11, v5, v10
	v_mul_f32_e32 v10, v4, v10
	v_fmac_f32_e32 v11, v4, v9
	v_fma_f32 v9, v5, v9, -v10
	s_waitcnt vmcnt(0)
	v_add_f32_e32 v7, v7, v11
	v_add_f32_e32 v8, v9, v8
	flat_store_dwordx2 v[1:2], v[7:8]
	v_add_co_u32_e32 v1, vcc, s0, v1
	v_addc_co_u32_e32 v2, vcc, v2, v6, vcc
	s_andn2_b64 exec, exec, s[2:3]
	s_cbranch_execnz .LBB37_12
.LBB37_13:
	s_endpgm
	.section	.rodata,"a",@progbits
	.p2align	6, 0x0
	.amdhsa_kernel _ZN9rocsolver6v33100L17larf_right_kernelILi1024E19rocblas_complex_numIfEiPKPS3_EEvT1_S7_T2_lS7_lPKT0_lS8_lS7_l
		.amdhsa_group_segment_fixed_size 0
		.amdhsa_private_segment_fixed_size 0
		.amdhsa_kernarg_size 88
		.amdhsa_user_sgpr_count 6
		.amdhsa_user_sgpr_private_segment_buffer 1
		.amdhsa_user_sgpr_dispatch_ptr 0
		.amdhsa_user_sgpr_queue_ptr 0
		.amdhsa_user_sgpr_kernarg_segment_ptr 1
		.amdhsa_user_sgpr_dispatch_id 0
		.amdhsa_user_sgpr_flat_scratch_init 0
		.amdhsa_user_sgpr_private_segment_size 0
		.amdhsa_uses_dynamic_stack 0
		.amdhsa_system_sgpr_private_segment_wavefront_offset 0
		.amdhsa_system_sgpr_workgroup_id_x 1
		.amdhsa_system_sgpr_workgroup_id_y 1
		.amdhsa_system_sgpr_workgroup_id_z 1
		.amdhsa_system_sgpr_workgroup_info 0
		.amdhsa_system_vgpr_workitem_id 0
		.amdhsa_next_free_vgpr 17
		.amdhsa_next_free_sgpr 30
		.amdhsa_reserve_vcc 1
		.amdhsa_reserve_flat_scratch 0
		.amdhsa_float_round_mode_32 0
		.amdhsa_float_round_mode_16_64 0
		.amdhsa_float_denorm_mode_32 3
		.amdhsa_float_denorm_mode_16_64 3
		.amdhsa_dx10_clamp 1
		.amdhsa_ieee_mode 1
		.amdhsa_fp16_overflow 0
		.amdhsa_exception_fp_ieee_invalid_op 0
		.amdhsa_exception_fp_denorm_src 0
		.amdhsa_exception_fp_ieee_div_zero 0
		.amdhsa_exception_fp_ieee_overflow 0
		.amdhsa_exception_fp_ieee_underflow 0
		.amdhsa_exception_fp_ieee_inexact 0
		.amdhsa_exception_int_div_zero 0
	.end_amdhsa_kernel
	.section	.text._ZN9rocsolver6v33100L17larf_right_kernelILi1024E19rocblas_complex_numIfEiPKPS3_EEvT1_S7_T2_lS7_lPKT0_lS8_lS7_l,"axG",@progbits,_ZN9rocsolver6v33100L17larf_right_kernelILi1024E19rocblas_complex_numIfEiPKPS3_EEvT1_S7_T2_lS7_lPKT0_lS8_lS7_l,comdat
.Lfunc_end37:
	.size	_ZN9rocsolver6v33100L17larf_right_kernelILi1024E19rocblas_complex_numIfEiPKPS3_EEvT1_S7_T2_lS7_lPKT0_lS8_lS7_l, .Lfunc_end37-_ZN9rocsolver6v33100L17larf_right_kernelILi1024E19rocblas_complex_numIfEiPKPS3_EEvT1_S7_T2_lS7_lPKT0_lS8_lS7_l
                                        ; -- End function
	.set _ZN9rocsolver6v33100L17larf_right_kernelILi1024E19rocblas_complex_numIfEiPKPS3_EEvT1_S7_T2_lS7_lPKT0_lS8_lS7_l.num_vgpr, 17
	.set _ZN9rocsolver6v33100L17larf_right_kernelILi1024E19rocblas_complex_numIfEiPKPS3_EEvT1_S7_T2_lS7_lPKT0_lS8_lS7_l.num_agpr, 0
	.set _ZN9rocsolver6v33100L17larf_right_kernelILi1024E19rocblas_complex_numIfEiPKPS3_EEvT1_S7_T2_lS7_lPKT0_lS8_lS7_l.numbered_sgpr, 30
	.set _ZN9rocsolver6v33100L17larf_right_kernelILi1024E19rocblas_complex_numIfEiPKPS3_EEvT1_S7_T2_lS7_lPKT0_lS8_lS7_l.num_named_barrier, 0
	.set _ZN9rocsolver6v33100L17larf_right_kernelILi1024E19rocblas_complex_numIfEiPKPS3_EEvT1_S7_T2_lS7_lPKT0_lS8_lS7_l.private_seg_size, 0
	.set _ZN9rocsolver6v33100L17larf_right_kernelILi1024E19rocblas_complex_numIfEiPKPS3_EEvT1_S7_T2_lS7_lPKT0_lS8_lS7_l.uses_vcc, 1
	.set _ZN9rocsolver6v33100L17larf_right_kernelILi1024E19rocblas_complex_numIfEiPKPS3_EEvT1_S7_T2_lS7_lPKT0_lS8_lS7_l.uses_flat_scratch, 0
	.set _ZN9rocsolver6v33100L17larf_right_kernelILi1024E19rocblas_complex_numIfEiPKPS3_EEvT1_S7_T2_lS7_lPKT0_lS8_lS7_l.has_dyn_sized_stack, 0
	.set _ZN9rocsolver6v33100L17larf_right_kernelILi1024E19rocblas_complex_numIfEiPKPS3_EEvT1_S7_T2_lS7_lPKT0_lS8_lS7_l.has_recursion, 0
	.set _ZN9rocsolver6v33100L17larf_right_kernelILi1024E19rocblas_complex_numIfEiPKPS3_EEvT1_S7_T2_lS7_lPKT0_lS8_lS7_l.has_indirect_call, 0
	.section	.AMDGPU.csdata,"",@progbits
; Kernel info:
; codeLenInByte = 1432
; TotalNumSgprs: 34
; NumVgprs: 17
; ScratchSize: 0
; MemoryBound: 0
; FloatMode: 240
; IeeeMode: 1
; LDSByteSize: 0 bytes/workgroup (compile time only)
; SGPRBlocks: 4
; VGPRBlocks: 4
; NumSGPRsForWavesPerEU: 34
; NumVGPRsForWavesPerEU: 17
; Occupancy: 10
; WaveLimiterHint : 0
; COMPUTE_PGM_RSRC2:SCRATCH_EN: 0
; COMPUTE_PGM_RSRC2:USER_SGPR: 6
; COMPUTE_PGM_RSRC2:TRAP_HANDLER: 0
; COMPUTE_PGM_RSRC2:TGID_X_EN: 1
; COMPUTE_PGM_RSRC2:TGID_Y_EN: 1
; COMPUTE_PGM_RSRC2:TGID_Z_EN: 1
; COMPUTE_PGM_RSRC2:TIDIG_COMP_CNT: 0
	.section	.text._ZN9rocsolver6v33100L9get_arrayI19rocblas_complex_numIfEiEEvPPT_S5_lT0_,"axG",@progbits,_ZN9rocsolver6v33100L9get_arrayI19rocblas_complex_numIfEiEEvPPT_S5_lT0_,comdat
	.globl	_ZN9rocsolver6v33100L9get_arrayI19rocblas_complex_numIfEiEEvPPT_S5_lT0_ ; -- Begin function _ZN9rocsolver6v33100L9get_arrayI19rocblas_complex_numIfEiEEvPPT_S5_lT0_
	.p2align	8
	.type	_ZN9rocsolver6v33100L9get_arrayI19rocblas_complex_numIfEiEEvPPT_S5_lT0_,@function
_ZN9rocsolver6v33100L9get_arrayI19rocblas_complex_numIfEiEEvPPT_S5_lT0_: ; @_ZN9rocsolver6v33100L9get_arrayI19rocblas_complex_numIfEiEEvPPT_S5_lT0_
; %bb.0:
	s_load_dword s0, s[4:5], 0x2c
	s_load_dword s1, s[4:5], 0x18
	s_waitcnt lgkmcnt(0)
	s_and_b32 s0, s0, 0xffff
	s_mul_i32 s6, s6, s0
	v_add_u32_e32 v0, s6, v0
	v_cmp_gt_i32_e32 vcc, s1, v0
	s_and_saveexec_b64 s[0:1], vcc
	s_cbranch_execz .LBB38_2
; %bb.1:
	s_load_dwordx2 s[6:7], s[4:5], 0x10
	s_load_dwordx4 s[0:3], s[4:5], 0x0
	v_ashrrev_i32_e32 v1, 31, v0
	s_waitcnt lgkmcnt(0)
	v_mul_lo_u32 v4, s7, v0
	v_mul_lo_u32 v5, s6, v1
	v_mad_u64_u32 v[2:3], s[4:5], s6, v0, 0
	v_mov_b32_e32 v6, s3
	v_lshlrev_b64 v[0:1], 3, v[0:1]
	v_add3_u32 v3, v3, v5, v4
	v_lshlrev_b64 v[2:3], 3, v[2:3]
	v_mov_b32_e32 v4, s1
	v_add_co_u32_e32 v2, vcc, s2, v2
	v_addc_co_u32_e32 v3, vcc, v6, v3, vcc
	v_add_co_u32_e32 v0, vcc, s0, v0
	v_addc_co_u32_e32 v1, vcc, v4, v1, vcc
	global_store_dwordx2 v[0:1], v[2:3], off
.LBB38_2:
	s_endpgm
	.section	.rodata,"a",@progbits
	.p2align	6, 0x0
	.amdhsa_kernel _ZN9rocsolver6v33100L9get_arrayI19rocblas_complex_numIfEiEEvPPT_S5_lT0_
		.amdhsa_group_segment_fixed_size 0
		.amdhsa_private_segment_fixed_size 0
		.amdhsa_kernarg_size 288
		.amdhsa_user_sgpr_count 6
		.amdhsa_user_sgpr_private_segment_buffer 1
		.amdhsa_user_sgpr_dispatch_ptr 0
		.amdhsa_user_sgpr_queue_ptr 0
		.amdhsa_user_sgpr_kernarg_segment_ptr 1
		.amdhsa_user_sgpr_dispatch_id 0
		.amdhsa_user_sgpr_flat_scratch_init 0
		.amdhsa_user_sgpr_private_segment_size 0
		.amdhsa_uses_dynamic_stack 0
		.amdhsa_system_sgpr_private_segment_wavefront_offset 0
		.amdhsa_system_sgpr_workgroup_id_x 1
		.amdhsa_system_sgpr_workgroup_id_y 0
		.amdhsa_system_sgpr_workgroup_id_z 0
		.amdhsa_system_sgpr_workgroup_info 0
		.amdhsa_system_vgpr_workitem_id 0
		.amdhsa_next_free_vgpr 7
		.amdhsa_next_free_sgpr 8
		.amdhsa_reserve_vcc 1
		.amdhsa_reserve_flat_scratch 0
		.amdhsa_float_round_mode_32 0
		.amdhsa_float_round_mode_16_64 0
		.amdhsa_float_denorm_mode_32 3
		.amdhsa_float_denorm_mode_16_64 3
		.amdhsa_dx10_clamp 1
		.amdhsa_ieee_mode 1
		.amdhsa_fp16_overflow 0
		.amdhsa_exception_fp_ieee_invalid_op 0
		.amdhsa_exception_fp_denorm_src 0
		.amdhsa_exception_fp_ieee_div_zero 0
		.amdhsa_exception_fp_ieee_overflow 0
		.amdhsa_exception_fp_ieee_underflow 0
		.amdhsa_exception_fp_ieee_inexact 0
		.amdhsa_exception_int_div_zero 0
	.end_amdhsa_kernel
	.section	.text._ZN9rocsolver6v33100L9get_arrayI19rocblas_complex_numIfEiEEvPPT_S5_lT0_,"axG",@progbits,_ZN9rocsolver6v33100L9get_arrayI19rocblas_complex_numIfEiEEvPPT_S5_lT0_,comdat
.Lfunc_end38:
	.size	_ZN9rocsolver6v33100L9get_arrayI19rocblas_complex_numIfEiEEvPPT_S5_lT0_, .Lfunc_end38-_ZN9rocsolver6v33100L9get_arrayI19rocblas_complex_numIfEiEEvPPT_S5_lT0_
                                        ; -- End function
	.set _ZN9rocsolver6v33100L9get_arrayI19rocblas_complex_numIfEiEEvPPT_S5_lT0_.num_vgpr, 7
	.set _ZN9rocsolver6v33100L9get_arrayI19rocblas_complex_numIfEiEEvPPT_S5_lT0_.num_agpr, 0
	.set _ZN9rocsolver6v33100L9get_arrayI19rocblas_complex_numIfEiEEvPPT_S5_lT0_.numbered_sgpr, 8
	.set _ZN9rocsolver6v33100L9get_arrayI19rocblas_complex_numIfEiEEvPPT_S5_lT0_.num_named_barrier, 0
	.set _ZN9rocsolver6v33100L9get_arrayI19rocblas_complex_numIfEiEEvPPT_S5_lT0_.private_seg_size, 0
	.set _ZN9rocsolver6v33100L9get_arrayI19rocblas_complex_numIfEiEEvPPT_S5_lT0_.uses_vcc, 1
	.set _ZN9rocsolver6v33100L9get_arrayI19rocblas_complex_numIfEiEEvPPT_S5_lT0_.uses_flat_scratch, 0
	.set _ZN9rocsolver6v33100L9get_arrayI19rocblas_complex_numIfEiEEvPPT_S5_lT0_.has_dyn_sized_stack, 0
	.set _ZN9rocsolver6v33100L9get_arrayI19rocblas_complex_numIfEiEEvPPT_S5_lT0_.has_recursion, 0
	.set _ZN9rocsolver6v33100L9get_arrayI19rocblas_complex_numIfEiEEvPPT_S5_lT0_.has_indirect_call, 0
	.section	.AMDGPU.csdata,"",@progbits
; Kernel info:
; codeLenInByte = 156
; TotalNumSgprs: 12
; NumVgprs: 7
; ScratchSize: 0
; MemoryBound: 0
; FloatMode: 240
; IeeeMode: 1
; LDSByteSize: 0 bytes/workgroup (compile time only)
; SGPRBlocks: 1
; VGPRBlocks: 1
; NumSGPRsForWavesPerEU: 12
; NumVGPRsForWavesPerEU: 7
; Occupancy: 10
; WaveLimiterHint : 0
; COMPUTE_PGM_RSRC2:SCRATCH_EN: 0
; COMPUTE_PGM_RSRC2:USER_SGPR: 6
; COMPUTE_PGM_RSRC2:TRAP_HANDLER: 0
; COMPUTE_PGM_RSRC2:TGID_X_EN: 1
; COMPUTE_PGM_RSRC2:TGID_Y_EN: 0
; COMPUTE_PGM_RSRC2:TGID_Z_EN: 0
; COMPUTE_PGM_RSRC2:TIDIG_COMP_CNT: 0
	.section	.text._ZN9rocsolver6v33100L12restore_diagI19rocblas_complex_numIfEiS3_PKPS3_EEvPT1_llT2_lT0_lSA_,"axG",@progbits,_ZN9rocsolver6v33100L12restore_diagI19rocblas_complex_numIfEiS3_PKPS3_EEvPT1_llT2_lT0_lSA_,comdat
	.globl	_ZN9rocsolver6v33100L12restore_diagI19rocblas_complex_numIfEiS3_PKPS3_EEvPT1_llT2_lT0_lSA_ ; -- Begin function _ZN9rocsolver6v33100L12restore_diagI19rocblas_complex_numIfEiS3_PKPS3_EEvPT1_llT2_lT0_lSA_
	.p2align	8
	.type	_ZN9rocsolver6v33100L12restore_diagI19rocblas_complex_numIfEiS3_PKPS3_EEvPT1_llT2_lT0_lSA_,@function
_ZN9rocsolver6v33100L12restore_diagI19rocblas_complex_numIfEiS3_PKPS3_EEvPT1_llT2_lT0_lSA_: ; @_ZN9rocsolver6v33100L12restore_diagI19rocblas_complex_numIfEiS3_PKPS3_EEvPT1_llT2_lT0_lSA_
; %bb.0:
	s_load_dword s0, s[4:5], 0x4c
	s_load_dword s1, s[4:5], 0x38
	s_waitcnt lgkmcnt(0)
	s_lshr_b32 s0, s0, 16
	s_mul_i32 s7, s7, s0
	v_add_u32_e32 v0, s7, v1
	v_cmp_gt_i32_e32 vcc, s1, v0
	s_and_saveexec_b64 s[0:1], vcc
	s_cbranch_execz .LBB39_2
; %bb.1:
	s_load_dwordx8 s[8:15], s[4:5], 0x0
	s_load_dwordx2 s[0:1], s[4:5], 0x20
	s_ashr_i32 s7, s6, 31
	s_lshl_b64 s[2:3], s[6:7], 3
	s_waitcnt lgkmcnt(0)
	s_add_u32 s2, s14, s2
	s_addc_u32 s3, s15, s3
	s_load_dwordx2 s[14:15], s[2:3], 0x0
	s_load_dword s16, s[4:5], 0x28
	s_lshl_b64 s[0:1], s[0:1], 3
	s_mul_hi_u32 s2, s12, s6
	s_mul_i32 s3, s12, s7
	s_waitcnt lgkmcnt(0)
	s_add_u32 s4, s14, s0
	s_addc_u32 s5, s15, s1
	s_add_i32 s0, s2, s3
	s_mul_i32 s1, s13, s6
	s_add_i32 s1, s0, s1
	s_mul_i32 s0, s12, s6
	s_lshl_b64 s[0:1], s[0:1], 3
	s_add_u32 s2, s8, s0
	s_addc_u32 s3, s9, s1
	s_lshl_b64 s[0:1], s[10:11], 3
	s_add_u32 s2, s2, s0
	s_addc_u32 s3, s3, s1
	v_mad_u64_u32 v[2:3], s[0:1], v0, s16, v[0:1]
	v_ashrrev_i32_e32 v1, 31, v0
	v_lshlrev_b64 v[0:1], 3, v[0:1]
	v_mov_b32_e32 v3, s3
	v_add_co_u32_e32 v0, vcc, s2, v0
	v_addc_co_u32_e32 v1, vcc, v3, v1, vcc
	global_load_dwordx2 v[0:1], v[0:1], off
	v_ashrrev_i32_e32 v3, 31, v2
	v_lshlrev_b64 v[2:3], 3, v[2:3]
	v_mov_b32_e32 v4, s5
	v_add_co_u32_e32 v2, vcc, s4, v2
	v_addc_co_u32_e32 v3, vcc, v4, v3, vcc
	s_waitcnt vmcnt(0)
	flat_store_dwordx2 v[2:3], v[0:1]
.LBB39_2:
	s_endpgm
	.section	.rodata,"a",@progbits
	.p2align	6, 0x0
	.amdhsa_kernel _ZN9rocsolver6v33100L12restore_diagI19rocblas_complex_numIfEiS3_PKPS3_EEvPT1_llT2_lT0_lSA_
		.amdhsa_group_segment_fixed_size 0
		.amdhsa_private_segment_fixed_size 0
		.amdhsa_kernarg_size 320
		.amdhsa_user_sgpr_count 6
		.amdhsa_user_sgpr_private_segment_buffer 1
		.amdhsa_user_sgpr_dispatch_ptr 0
		.amdhsa_user_sgpr_queue_ptr 0
		.amdhsa_user_sgpr_kernarg_segment_ptr 1
		.amdhsa_user_sgpr_dispatch_id 0
		.amdhsa_user_sgpr_flat_scratch_init 0
		.amdhsa_user_sgpr_private_segment_size 0
		.amdhsa_uses_dynamic_stack 0
		.amdhsa_system_sgpr_private_segment_wavefront_offset 0
		.amdhsa_system_sgpr_workgroup_id_x 1
		.amdhsa_system_sgpr_workgroup_id_y 1
		.amdhsa_system_sgpr_workgroup_id_z 0
		.amdhsa_system_sgpr_workgroup_info 0
		.amdhsa_system_vgpr_workitem_id 1
		.amdhsa_next_free_vgpr 5
		.amdhsa_next_free_sgpr 17
		.amdhsa_reserve_vcc 1
		.amdhsa_reserve_flat_scratch 0
		.amdhsa_float_round_mode_32 0
		.amdhsa_float_round_mode_16_64 0
		.amdhsa_float_denorm_mode_32 3
		.amdhsa_float_denorm_mode_16_64 3
		.amdhsa_dx10_clamp 1
		.amdhsa_ieee_mode 1
		.amdhsa_fp16_overflow 0
		.amdhsa_exception_fp_ieee_invalid_op 0
		.amdhsa_exception_fp_denorm_src 0
		.amdhsa_exception_fp_ieee_div_zero 0
		.amdhsa_exception_fp_ieee_overflow 0
		.amdhsa_exception_fp_ieee_underflow 0
		.amdhsa_exception_fp_ieee_inexact 0
		.amdhsa_exception_int_div_zero 0
	.end_amdhsa_kernel
	.section	.text._ZN9rocsolver6v33100L12restore_diagI19rocblas_complex_numIfEiS3_PKPS3_EEvPT1_llT2_lT0_lSA_,"axG",@progbits,_ZN9rocsolver6v33100L12restore_diagI19rocblas_complex_numIfEiS3_PKPS3_EEvPT1_llT2_lT0_lSA_,comdat
.Lfunc_end39:
	.size	_ZN9rocsolver6v33100L12restore_diagI19rocblas_complex_numIfEiS3_PKPS3_EEvPT1_llT2_lT0_lSA_, .Lfunc_end39-_ZN9rocsolver6v33100L12restore_diagI19rocblas_complex_numIfEiS3_PKPS3_EEvPT1_llT2_lT0_lSA_
                                        ; -- End function
	.set _ZN9rocsolver6v33100L12restore_diagI19rocblas_complex_numIfEiS3_PKPS3_EEvPT1_llT2_lT0_lSA_.num_vgpr, 5
	.set _ZN9rocsolver6v33100L12restore_diagI19rocblas_complex_numIfEiS3_PKPS3_EEvPT1_llT2_lT0_lSA_.num_agpr, 0
	.set _ZN9rocsolver6v33100L12restore_diagI19rocblas_complex_numIfEiS3_PKPS3_EEvPT1_llT2_lT0_lSA_.numbered_sgpr, 17
	.set _ZN9rocsolver6v33100L12restore_diagI19rocblas_complex_numIfEiS3_PKPS3_EEvPT1_llT2_lT0_lSA_.num_named_barrier, 0
	.set _ZN9rocsolver6v33100L12restore_diagI19rocblas_complex_numIfEiS3_PKPS3_EEvPT1_llT2_lT0_lSA_.private_seg_size, 0
	.set _ZN9rocsolver6v33100L12restore_diagI19rocblas_complex_numIfEiS3_PKPS3_EEvPT1_llT2_lT0_lSA_.uses_vcc, 1
	.set _ZN9rocsolver6v33100L12restore_diagI19rocblas_complex_numIfEiS3_PKPS3_EEvPT1_llT2_lT0_lSA_.uses_flat_scratch, 0
	.set _ZN9rocsolver6v33100L12restore_diagI19rocblas_complex_numIfEiS3_PKPS3_EEvPT1_llT2_lT0_lSA_.has_dyn_sized_stack, 0
	.set _ZN9rocsolver6v33100L12restore_diagI19rocblas_complex_numIfEiS3_PKPS3_EEvPT1_llT2_lT0_lSA_.has_recursion, 0
	.set _ZN9rocsolver6v33100L12restore_diagI19rocblas_complex_numIfEiS3_PKPS3_EEvPT1_llT2_lT0_lSA_.has_indirect_call, 0
	.section	.AMDGPU.csdata,"",@progbits
; Kernel info:
; codeLenInByte = 240
; TotalNumSgprs: 21
; NumVgprs: 5
; ScratchSize: 0
; MemoryBound: 0
; FloatMode: 240
; IeeeMode: 1
; LDSByteSize: 0 bytes/workgroup (compile time only)
; SGPRBlocks: 2
; VGPRBlocks: 1
; NumSGPRsForWavesPerEU: 21
; NumVGPRsForWavesPerEU: 5
; Occupancy: 10
; WaveLimiterHint : 1
; COMPUTE_PGM_RSRC2:SCRATCH_EN: 0
; COMPUTE_PGM_RSRC2:USER_SGPR: 6
; COMPUTE_PGM_RSRC2:TRAP_HANDLER: 0
; COMPUTE_PGM_RSRC2:TGID_X_EN: 1
; COMPUTE_PGM_RSRC2:TGID_Y_EN: 1
; COMPUTE_PGM_RSRC2:TGID_Z_EN: 0
; COMPUTE_PGM_RSRC2:TIDIG_COMP_CNT: 1
	.section	.text._ZN9rocsolver6v33100L14set_triangularI19rocblas_complex_numIfEPKPS3_TnNSt9enable_ifIX18rocblas_is_complexIT_EEiE4typeELi0EEEviiT0_iilPS8_lSC_il15rocblas_direct_15rocblas_storev_b,"axG",@progbits,_ZN9rocsolver6v33100L14set_triangularI19rocblas_complex_numIfEPKPS3_TnNSt9enable_ifIX18rocblas_is_complexIT_EEiE4typeELi0EEEviiT0_iilPS8_lSC_il15rocblas_direct_15rocblas_storev_b,comdat
	.globl	_ZN9rocsolver6v33100L14set_triangularI19rocblas_complex_numIfEPKPS3_TnNSt9enable_ifIX18rocblas_is_complexIT_EEiE4typeELi0EEEviiT0_iilPS8_lSC_il15rocblas_direct_15rocblas_storev_b ; -- Begin function _ZN9rocsolver6v33100L14set_triangularI19rocblas_complex_numIfEPKPS3_TnNSt9enable_ifIX18rocblas_is_complexIT_EEiE4typeELi0EEEviiT0_iilPS8_lSC_il15rocblas_direct_15rocblas_storev_b
	.p2align	8
	.type	_ZN9rocsolver6v33100L14set_triangularI19rocblas_complex_numIfEPKPS3_TnNSt9enable_ifIX18rocblas_is_complexIT_EEiE4typeELi0EEEviiT0_iilPS8_lSC_il15rocblas_direct_15rocblas_storev_b,@function
_ZN9rocsolver6v33100L14set_triangularI19rocblas_complex_numIfEPKPS3_TnNSt9enable_ifIX18rocblas_is_complexIT_EEiE4typeELi0EEEviiT0_iilPS8_lSC_il15rocblas_direct_15rocblas_storev_b: ; @_ZN9rocsolver6v33100L14set_triangularI19rocblas_complex_numIfEPKPS3_TnNSt9enable_ifIX18rocblas_is_complexIT_EEiE4typeELi0EEEviiT0_iilPS8_lSC_il15rocblas_direct_15rocblas_storev_b
; %bb.0:
	s_load_dword s0, s[4:5], 0x64
	s_load_dwordx2 s[10:11], s[4:5], 0x0
	s_waitcnt lgkmcnt(0)
	s_lshr_b32 s1, s0, 16
	s_and_b32 s0, s0, 0xffff
	s_mul_i32 s6, s6, s0
	s_mul_i32 s7, s7, s1
	v_add_u32_e32 v0, s6, v0
	v_add_u32_e32 v2, s7, v1
	v_max_u32_e32 v1, v0, v2
	v_cmp_gt_u32_e32 vcc, s11, v1
	s_and_saveexec_b64 s[0:1], vcc
	s_cbranch_execz .LBB40_36
; %bb.1:
	s_load_dwordx4 s[0:3], s[4:5], 0x20
	s_load_dwordx2 s[6:7], s[4:5], 0x30
	s_load_dword s16, s[4:5], 0x38
	s_load_dwordx2 s[12:13], s[4:5], 0x40
	v_cmp_ne_u32_e32 vcc, v2, v0
	s_waitcnt lgkmcnt(0)
	s_mul_i32 s3, s3, s8
	s_mul_hi_u32 s9, s2, s8
	s_add_i32 s3, s9, s3
	s_mul_i32 s2, s2, s8
	s_lshl_b64 s[2:3], s[2:3], 3
	s_add_u32 s19, s0, s2
	s_addc_u32 s20, s1, s3
	s_mul_i32 s0, s13, s8
	s_mul_hi_u32 s1, s12, s8
	s_add_i32 s1, s1, s0
	s_mul_i32 s0, s12, s8
	s_lshl_b64 s[0:1], s[0:1], 3
	s_add_u32 s17, s6, s0
	s_addc_u32 s18, s7, s1
	s_and_saveexec_b64 s[0:1], vcc
	s_xor_b64 s[6:7], exec, s[0:1]
	s_cbranch_execz .LBB40_34
; %bb.2:
	s_load_dwordx4 s[0:3], s[4:5], 0x8
	s_load_dwordx4 s[12:15], s[4:5], 0x48
	s_mov_b32 s9, 0
	s_lshl_b64 s[4:5], s[8:9], 3
	v_mov_b32_e32 v1, 0
	s_waitcnt lgkmcnt(0)
	s_ashr_i32 s9, s2, 31
	s_add_u32 s0, s0, s4
	s_addc_u32 s1, s1, s5
	s_load_dwordx2 s[0:1], s[0:1], 0x0
	s_mov_b32 s8, s2
	s_lshl_b64 s[4:5], s[8:9], 3
	s_waitcnt lgkmcnt(0)
	s_add_u32 s2, s0, s4
	s_addc_u32 s15, s1, s5
	s_bitcmp1_b32 s14, 0
	s_cselect_b64 s[0:1], -1, 0
	s_xor_b64 s[0:1], s[0:1], -1
	s_mov_b64 s[4:5], -1
	s_cmpk_lg_i32 s12, 0xab
	s_cbranch_scc0 .LBB40_18
; %bb.3:
	v_cmp_le_u32_e32 vcc, v2, v0
	s_and_saveexec_b64 s[4:5], vcc
	s_xor_b64 s[4:5], exec, s[4:5]
	s_cbranch_execz .LBB40_5
; %bb.4:
	v_mad_u64_u32 v[4:5], s[8:9], v0, s16, 0
	s_ashr_i32 s8, s16, 31
	v_mov_b32_e32 v3, v5
	v_mad_u64_u32 v[5:6], s[8:9], v0, s8, v[3:4]
	v_mov_b32_e32 v3, 0
	v_mov_b32_e32 v6, s18
	v_lshlrev_b64 v[4:5], 3, v[4:5]
	v_add_co_u32_e32 v7, vcc, s17, v4
	v_addc_co_u32_e32 v6, vcc, v6, v5, vcc
	v_lshlrev_b64 v[4:5], 3, v[2:3]
	v_add_co_u32_e32 v4, vcc, v7, v4
	v_addc_co_u32_e32 v5, vcc, v6, v5, vcc
	v_mov_b32_e32 v6, v3
	v_mov_b32_e32 v7, v3
	global_store_dwordx2 v[4:5], v[6:7], off
.LBB40_5:
	s_andn2_saveexec_b64 s[4:5], s[4:5]
	s_cbranch_execz .LBB40_17
; %bb.6:
	v_lshlrev_b64 v[3:4], 3, v[0:1]
	v_mov_b32_e32 v5, s20
	v_add_co_u32_e32 v3, vcc, s19, v3
	v_addc_co_u32_e32 v4, vcc, v5, v4, vcc
	global_load_dwordx2 v[4:5], v[3:4], off
	s_cmpk_lg_i32 s13, 0xb5
	s_mov_b64 s[8:9], -1
	s_cbranch_scc0 .LBB40_12
; %bb.7:
	v_mov_b32_e32 v3, 0
	v_lshlrev_b64 v[6:7], 3, v[2:3]
	s_andn2_b64 vcc, exec, s[0:1]
	s_cbranch_vccnz .LBB40_9
; %bb.8:
	s_sub_i32 s8, s10, s11
	v_add_u32_e32 v10, s8, v0
	v_mad_u64_u32 v[8:9], s[8:9], v10, s3, 0
	s_ashr_i32 s8, s3, 31
	v_mov_b32_e32 v3, v9
	s_waitcnt vmcnt(0)
	v_mad_u64_u32 v[9:10], s[8:9], v10, s8, v[3:4]
	v_mov_b32_e32 v3, s15
	v_mad_u64_u32 v[10:11], s[8:9], v0, s16, 0
	v_lshlrev_b64 v[8:9], 3, v[8:9]
	s_ashr_i32 s8, s16, 31
	v_add_co_u32_e32 v8, vcc, s2, v8
	v_addc_co_u32_e32 v3, vcc, v3, v9, vcc
	v_add_co_u32_e32 v8, vcc, v8, v6
	v_addc_co_u32_e32 v9, vcc, v3, v7, vcc
	flat_load_dwordx2 v[8:9], v[8:9]
	v_mov_b32_e32 v3, v11
	v_mad_u64_u32 v[11:12], s[8:9], v0, s8, v[3:4]
	v_mov_b32_e32 v3, s18
	s_mov_b64 s[8:9], 0
	v_lshlrev_b64 v[10:11], 3, v[10:11]
	v_add_co_u32_e32 v10, vcc, s17, v10
	v_addc_co_u32_e32 v3, vcc, v3, v11, vcc
	v_add_co_u32_e32 v10, vcc, v10, v6
	v_addc_co_u32_e32 v11, vcc, v3, v7, vcc
	s_waitcnt vmcnt(0) lgkmcnt(0)
	v_mul_f32_e32 v3, v4, v8
	v_mul_f32_e32 v13, v4, v9
	v_fma_f32 v12, v5, v9, -v3
	v_fma_f32 v13, v8, -v5, -v13
	global_store_dwordx2 v[10:11], v[12:13], off
.LBB40_9:
	s_andn2_b64 vcc, exec, s[8:9]
	s_cbranch_vccnz .LBB40_11
; %bb.10:
	v_mad_u64_u32 v[8:9], s[8:9], v0, s16, 0
	s_ashr_i32 s8, s16, 31
	v_mov_b32_e32 v3, v9
	s_waitcnt vmcnt(0)
	v_mad_u64_u32 v[9:10], s[8:9], v0, s8, v[3:4]
	s_sub_i32 s8, s10, s11
	v_add_u32_e32 v12, s8, v0
	v_mad_u64_u32 v[10:11], s[8:9], v12, s3, 0
	v_lshlrev_b64 v[8:9], 3, v[8:9]
	v_mov_b32_e32 v3, s18
	v_add_co_u32_e32 v13, vcc, s17, v8
	v_addc_co_u32_e32 v14, vcc, v3, v9, vcc
	s_ashr_i32 s8, s3, 31
	v_mov_b32_e32 v3, v11
	v_mad_u64_u32 v[8:9], s[8:9], v12, s8, v[3:4]
	v_add_co_u32_e32 v12, vcc, v13, v6
	v_mov_b32_e32 v11, v8
	v_lshlrev_b64 v[8:9], 3, v[10:11]
	v_addc_co_u32_e32 v13, vcc, v14, v7, vcc
	v_mov_b32_e32 v3, s15
	v_add_co_u32_e32 v8, vcc, s2, v8
	v_addc_co_u32_e32 v3, vcc, v3, v9, vcc
	v_add_co_u32_e32 v6, vcc, v8, v6
	v_addc_co_u32_e32 v7, vcc, v3, v7, vcc
	global_load_dwordx2 v[8:9], v[12:13], off
	flat_load_dwordx2 v[10:11], v[6:7]
	s_waitcnt vmcnt(0) lgkmcnt(0)
	v_add_f32_e32 v3, v10, v8
	v_add_f32_e32 v6, v11, v9
	v_mul_f32_e32 v7, v4, v3
	v_mul_f32_e32 v8, v4, v6
	v_fma_f32 v6, v5, v6, -v7
	v_fma_f32 v7, v3, -v5, -v8
	global_store_dwordx2 v[12:13], v[6:7], off
.LBB40_11:
	s_mov_b64 s[8:9], 0
.LBB40_12:
	s_andn2_b64 vcc, exec, s[8:9]
	s_cbranch_vccnz .LBB40_17
; %bb.13:
	s_andn2_b64 vcc, exec, s[0:1]
	s_mov_b64 s[8:9], -1
	s_cbranch_vccnz .LBB40_15
; %bb.14:
	v_mad_u64_u32 v[6:7], s[8:9], v2, s3, 0
	s_ashr_i32 s8, s3, 31
	v_mov_b32_e32 v9, 0
	v_mov_b32_e32 v3, v7
	s_waitcnt vmcnt(0)
	v_mad_u64_u32 v[7:8], s[8:9], v2, s8, v[3:4]
	s_sub_i32 s8, s10, s11
	v_add_u32_e32 v8, s8, v0
	v_lshlrev_b64 v[6:7], 3, v[6:7]
	v_mov_b32_e32 v3, s15
	v_add_co_u32_e32 v10, vcc, s2, v6
	v_addc_co_u32_e32 v3, vcc, v3, v7, vcc
	v_lshlrev_b64 v[6:7], 3, v[8:9]
	v_add_co_u32_e32 v6, vcc, v10, v6
	v_addc_co_u32_e32 v7, vcc, v3, v7, vcc
	flat_load_dwordx2 v[6:7], v[6:7]
	v_mad_u64_u32 v[10:11], s[8:9], v0, s16, 0
	s_ashr_i32 s8, s16, 31
	v_mov_b32_e32 v3, v11
	v_mad_u64_u32 v[11:12], s[8:9], v0, s8, v[3:4]
	v_mov_b32_e32 v3, v9
	v_mov_b32_e32 v12, s18
	v_lshlrev_b64 v[10:11], 3, v[10:11]
	v_lshlrev_b64 v[8:9], 3, v[2:3]
	v_add_co_u32_e32 v3, vcc, s17, v10
	v_addc_co_u32_e32 v10, vcc, v12, v11, vcc
	v_add_co_u32_e32 v8, vcc, v3, v8
	v_addc_co_u32_e32 v9, vcc, v10, v9, vcc
	s_mov_b64 s[8:9], 0
	s_waitcnt vmcnt(0) lgkmcnt(0)
	v_mul_f32_e32 v3, v5, v7
	v_mul_f32_e32 v10, v5, v6
	v_fma_f32 v6, v6, -v4, -v3
	v_fma_f32 v7, v4, v7, -v10
	global_store_dwordx2 v[8:9], v[6:7], off
.LBB40_15:
	s_andn2_b64 vcc, exec, s[8:9]
	s_cbranch_vccnz .LBB40_17
; %bb.16:
	v_mad_u64_u32 v[6:7], s[8:9], v0, s16, 0
	s_ashr_i32 s8, s16, 31
	v_mov_b32_e32 v3, v7
	s_waitcnt vmcnt(0)
	v_mad_u64_u32 v[7:8], s[8:9], v0, s8, v[3:4]
	v_mov_b32_e32 v8, s18
	v_mov_b32_e32 v3, 0
	v_lshlrev_b64 v[6:7], 3, v[6:7]
	v_add_co_u32_e32 v10, vcc, s17, v6
	v_addc_co_u32_e32 v11, vcc, v8, v7, vcc
	v_mad_u64_u32 v[8:9], s[8:9], v2, s3, 0
	v_lshlrev_b64 v[6:7], 3, v[2:3]
	s_ashr_i32 s8, s3, 31
	v_add_co_u32_e32 v6, vcc, v10, v6
	v_mad_u64_u32 v[9:10], s[8:9], v2, s8, v[9:10]
	v_addc_co_u32_e32 v7, vcc, v11, v7, vcc
	v_lshlrev_b64 v[8:9], 3, v[8:9]
	s_sub_i32 s8, s10, s11
	v_add_u32_e32 v10, s8, v0
	v_mov_b32_e32 v11, v3
	v_mov_b32_e32 v3, s15
	v_add_co_u32_e32 v12, vcc, s2, v8
	v_addc_co_u32_e32 v3, vcc, v3, v9, vcc
	v_lshlrev_b64 v[8:9], 3, v[10:11]
	v_add_co_u32_e32 v8, vcc, v12, v8
	v_addc_co_u32_e32 v9, vcc, v3, v9, vcc
	flat_load_dwordx2 v[10:11], v[8:9]
	global_load_dwordx2 v[12:13], v[6:7], off
	s_waitcnt vmcnt(0) lgkmcnt(0)
	v_add_f32_e32 v8, v10, v12
	v_sub_f32_e32 v3, v13, v11
	v_mul_f32_e32 v9, v4, v8
	v_mul_f32_e32 v4, v4, v3
	v_fma_f32 v3, v5, v3, -v9
	v_fma_f32 v4, v8, -v5, -v4
	global_store_dwordx2 v[6:7], v[3:4], off
.LBB40_17:
	s_or_b64 exec, exec, s[4:5]
	s_mov_b64 s[4:5], 0
.LBB40_18:
	s_andn2_b64 vcc, exec, s[4:5]
	s_cbranch_vccnz .LBB40_34
; %bb.19:
	v_cmp_ge_u32_e32 vcc, v2, v0
	s_and_saveexec_b64 s[4:5], vcc
	s_xor_b64 s[4:5], exec, s[4:5]
	s_cbranch_execz .LBB40_21
; %bb.20:
	s_waitcnt vmcnt(0)
	v_mad_u64_u32 v[4:5], s[8:9], v0, s16, 0
	s_ashr_i32 s8, s16, 31
	v_mov_b32_e32 v3, 0
	v_mov_b32_e32 v1, v5
	v_mad_u64_u32 v[0:1], s[8:9], v0, s8, v[1:2]
	v_mov_b32_e32 v6, s18
	v_mov_b32_e32 v5, v0
	v_lshlrev_b64 v[0:1], 3, v[4:5]
	v_add_co_u32_e32 v4, vcc, s17, v0
	v_addc_co_u32_e32 v5, vcc, v6, v1, vcc
	v_lshlrev_b64 v[0:1], 3, v[2:3]
	v_mov_b32_e32 v2, v3
	v_add_co_u32_e32 v0, vcc, v4, v0
	v_addc_co_u32_e32 v1, vcc, v5, v1, vcc
	global_store_dwordx2 v[0:1], v[2:3], off
                                        ; implicit-def: $vgpr0_vgpr1
                                        ; implicit-def: $vgpr2
.LBB40_21:
	s_andn2_saveexec_b64 s[4:5], s[4:5]
	s_cbranch_execz .LBB40_33
; %bb.22:
	v_lshlrev_b64 v[6:7], 3, v[0:1]
	v_mov_b32_e32 v1, s20
	v_add_co_u32_e32 v3, vcc, s19, v6
	s_waitcnt vmcnt(0)
	v_addc_co_u32_e32 v4, vcc, v1, v7, vcc
	global_load_dwordx2 v[4:5], v[3:4], off
	v_cndmask_b32_e64 v1, 0, 1, s[0:1]
	s_cmpk_lg_i32 s13, 0xb5
	s_mov_b64 s[8:9], -1
	v_cmp_ne_u32_e64 s[0:1], 1, v1
	s_cbranch_scc0 .LBB40_28
; %bb.23:
	v_mov_b32_e32 v3, 0
	v_lshlrev_b64 v[8:9], 3, v[2:3]
	s_and_b64 vcc, exec, s[0:1]
	s_cbranch_vccnz .LBB40_25
; %bb.24:
	v_mad_u64_u32 v[10:11], s[8:9], v0, s3, 0
	s_ashr_i32 s8, s3, 31
	v_mov_b32_e32 v1, v11
	v_mad_u64_u32 v[11:12], s[8:9], v0, s8, v[1:2]
	v_mov_b32_e32 v1, s15
	v_mad_u64_u32 v[12:13], s[8:9], v0, s16, 0
	v_lshlrev_b64 v[10:11], 3, v[10:11]
	s_ashr_i32 s8, s16, 31
	v_add_co_u32_e32 v3, vcc, s2, v10
	v_addc_co_u32_e32 v1, vcc, v1, v11, vcc
	v_add_co_u32_e32 v10, vcc, v3, v8
	v_addc_co_u32_e32 v11, vcc, v1, v9, vcc
	flat_load_dwordx2 v[10:11], v[10:11]
	v_mov_b32_e32 v1, v13
	v_mad_u64_u32 v[13:14], s[8:9], v0, s8, v[1:2]
	v_mov_b32_e32 v1, s18
	s_mov_b64 s[8:9], 0
	v_lshlrev_b64 v[12:13], 3, v[12:13]
	v_add_co_u32_e32 v3, vcc, s17, v12
	v_addc_co_u32_e32 v1, vcc, v1, v13, vcc
	v_add_co_u32_e32 v12, vcc, v3, v8
	v_addc_co_u32_e32 v13, vcc, v1, v9, vcc
	s_waitcnt vmcnt(0) lgkmcnt(0)
	v_mul_f32_e32 v1, v4, v10
	v_mul_f32_e32 v3, v4, v11
	v_fma_f32 v14, v5, v11, -v1
	v_fma_f32 v15, v10, -v5, -v3
	global_store_dwordx2 v[12:13], v[14:15], off
.LBB40_25:
	s_andn2_b64 vcc, exec, s[8:9]
	s_cbranch_vccnz .LBB40_27
; %bb.26:
	v_mad_u64_u32 v[10:11], s[8:9], v0, s16, 0
	s_ashr_i32 s8, s16, 31
	v_mov_b32_e32 v1, v11
	v_mad_u64_u32 v[11:12], s[8:9], v0, s8, v[1:2]
	v_mad_u64_u32 v[12:13], s[8:9], v0, s3, 0
	v_lshlrev_b64 v[10:11], 3, v[10:11]
	v_mov_b32_e32 v1, s18
	v_add_co_u32_e32 v3, vcc, s17, v10
	v_addc_co_u32_e32 v15, vcc, v1, v11, vcc
	s_ashr_i32 s8, s3, 31
	v_mov_b32_e32 v1, v13
	v_mad_u64_u32 v[10:11], s[8:9], v0, s8, v[1:2]
	v_add_co_u32_e32 v14, vcc, v3, v8
	v_mov_b32_e32 v13, v10
	v_lshlrev_b64 v[10:11], 3, v[12:13]
	v_addc_co_u32_e32 v15, vcc, v15, v9, vcc
	v_mov_b32_e32 v1, s15
	v_add_co_u32_e32 v3, vcc, s2, v10
	v_addc_co_u32_e32 v1, vcc, v1, v11, vcc
	v_add_co_u32_e32 v8, vcc, v3, v8
	v_addc_co_u32_e32 v9, vcc, v1, v9, vcc
	global_load_dwordx2 v[10:11], v[14:15], off
	flat_load_dwordx2 v[12:13], v[8:9]
	s_waitcnt vmcnt(0) lgkmcnt(0)
	v_add_f32_e32 v1, v12, v10
	v_add_f32_e32 v3, v13, v11
	v_mul_f32_e32 v8, v4, v1
	v_mul_f32_e32 v9, v4, v3
	v_fma_f32 v8, v5, v3, -v8
	v_fma_f32 v9, v1, -v5, -v9
	global_store_dwordx2 v[14:15], v[8:9], off
.LBB40_27:
	s_mov_b64 s[8:9], 0
.LBB40_28:
	s_andn2_b64 vcc, exec, s[8:9]
	s_cbranch_vccnz .LBB40_33
; %bb.29:
	v_mov_b32_e32 v3, 0
	v_lshlrev_b64 v[8:9], 3, v[2:3]
	s_and_b64 vcc, exec, s[0:1]
	s_mov_b64 s[0:1], -1
	s_cbranch_vccnz .LBB40_31
; %bb.30:
	v_mad_u64_u32 v[10:11], s[0:1], v2, s3, 0
	s_ashr_i32 s0, s3, 31
	v_mov_b32_e32 v1, v11
	v_mad_u64_u32 v[11:12], s[0:1], v2, s0, v[1:2]
	v_mov_b32_e32 v1, s15
	v_mad_u64_u32 v[12:13], s[0:1], v0, s16, 0
	v_lshlrev_b64 v[10:11], 3, v[10:11]
	s_ashr_i32 s0, s16, 31
	v_add_co_u32_e32 v3, vcc, s2, v10
	v_addc_co_u32_e32 v1, vcc, v1, v11, vcc
	v_add_co_u32_e32 v10, vcc, v3, v6
	v_addc_co_u32_e32 v11, vcc, v1, v7, vcc
	flat_load_dwordx2 v[10:11], v[10:11]
	v_mov_b32_e32 v1, v13
	v_mad_u64_u32 v[13:14], s[0:1], v0, s0, v[1:2]
	v_mov_b32_e32 v1, s18
	s_mov_b64 s[0:1], 0
	v_lshlrev_b64 v[12:13], 3, v[12:13]
	v_add_co_u32_e32 v3, vcc, s17, v12
	v_addc_co_u32_e32 v1, vcc, v1, v13, vcc
	v_add_co_u32_e32 v12, vcc, v3, v8
	v_addc_co_u32_e32 v13, vcc, v1, v9, vcc
	s_waitcnt vmcnt(0) lgkmcnt(0)
	v_mul_f32_e32 v1, v5, v11
	v_mul_f32_e32 v3, v5, v10
	v_fma_f32 v10, v10, -v4, -v1
	v_fma_f32 v11, v4, v11, -v3
	global_store_dwordx2 v[12:13], v[10:11], off
.LBB40_31:
	s_andn2_b64 vcc, exec, s[0:1]
	s_cbranch_vccnz .LBB40_33
; %bb.32:
	v_mad_u64_u32 v[10:11], s[0:1], v0, s16, 0
	s_ashr_i32 s0, s16, 31
	v_mov_b32_e32 v3, s18
	v_mov_b32_e32 v1, v11
	v_mad_u64_u32 v[0:1], s[0:1], v0, s0, v[1:2]
	v_mad_u64_u32 v[12:13], s[0:1], v2, s3, 0
	v_mov_b32_e32 v11, v0
	v_lshlrev_b64 v[0:1], 3, v[10:11]
	s_ashr_i32 s0, s3, 31
	v_add_co_u32_e32 v10, vcc, s17, v0
	v_mov_b32_e32 v0, v13
	v_addc_co_u32_e32 v3, vcc, v3, v1, vcc
	v_mad_u64_u32 v[0:1], s[0:1], v2, s0, v[0:1]
	v_add_co_u32_e32 v1, vcc, v10, v8
	v_mov_b32_e32 v13, v0
	v_addc_co_u32_e32 v2, vcc, v3, v9, vcc
	v_lshlrev_b64 v[8:9], 3, v[12:13]
	v_mov_b32_e32 v0, s15
	v_add_co_u32_e32 v3, vcc, s2, v8
	v_addc_co_u32_e32 v0, vcc, v0, v9, vcc
	v_add_co_u32_e32 v6, vcc, v3, v6
	v_addc_co_u32_e32 v7, vcc, v0, v7, vcc
	flat_load_dwordx2 v[8:9], v[6:7]
	global_load_dwordx2 v[10:11], v[1:2], off
	s_waitcnt vmcnt(0) lgkmcnt(0)
	v_add_f32_e32 v0, v8, v10
	v_sub_f32_e32 v3, v11, v9
	v_mul_f32_e32 v6, v4, v0
	v_mul_f32_e32 v4, v4, v3
	v_fma_f32 v3, v5, v3, -v6
	v_fma_f32 v4, v0, -v5, -v4
	global_store_dwordx2 v[1:2], v[3:4], off
.LBB40_33:
	s_or_b64 exec, exec, s[4:5]
                                        ; implicit-def: $vgpr0
.LBB40_34:
	s_andn2_saveexec_b64 s[0:1], s[6:7]
	s_cbranch_execz .LBB40_36
; %bb.35:
	v_mov_b32_e32 v1, 0
	v_lshlrev_b64 v[1:2], 3, v[0:1]
	s_waitcnt vmcnt(0)
	v_mov_b32_e32 v4, s20
	v_add_co_u32_e32 v3, vcc, s19, v1
	v_addc_co_u32_e32 v4, vcc, v4, v2, vcc
	global_load_dwordx2 v[3:4], v[3:4], off
	v_mad_u64_u32 v[5:6], s[0:1], v0, s16, 0
	s_ashr_i32 s0, s16, 31
	v_mad_u64_u32 v[6:7], s[0:1], v0, s0, v[6:7]
	v_mov_b32_e32 v0, s18
	v_lshlrev_b64 v[5:6], 3, v[5:6]
	v_add_co_u32_e32 v5, vcc, s17, v5
	v_addc_co_u32_e32 v6, vcc, v0, v6, vcc
	v_add_co_u32_e32 v0, vcc, v5, v1
	v_addc_co_u32_e32 v1, vcc, v6, v2, vcc
	s_waitcnt vmcnt(0)
	global_store_dwordx2 v[0:1], v[3:4], off
.LBB40_36:
	s_endpgm
	.section	.rodata,"a",@progbits
	.p2align	6, 0x0
	.amdhsa_kernel _ZN9rocsolver6v33100L14set_triangularI19rocblas_complex_numIfEPKPS3_TnNSt9enable_ifIX18rocblas_is_complexIT_EEiE4typeELi0EEEviiT0_iilPS8_lSC_il15rocblas_direct_15rocblas_storev_b
		.amdhsa_group_segment_fixed_size 0
		.amdhsa_private_segment_fixed_size 0
		.amdhsa_kernarg_size 344
		.amdhsa_user_sgpr_count 6
		.amdhsa_user_sgpr_private_segment_buffer 1
		.amdhsa_user_sgpr_dispatch_ptr 0
		.amdhsa_user_sgpr_queue_ptr 0
		.amdhsa_user_sgpr_kernarg_segment_ptr 1
		.amdhsa_user_sgpr_dispatch_id 0
		.amdhsa_user_sgpr_flat_scratch_init 0
		.amdhsa_user_sgpr_private_segment_size 0
		.amdhsa_uses_dynamic_stack 0
		.amdhsa_system_sgpr_private_segment_wavefront_offset 0
		.amdhsa_system_sgpr_workgroup_id_x 1
		.amdhsa_system_sgpr_workgroup_id_y 1
		.amdhsa_system_sgpr_workgroup_id_z 1
		.amdhsa_system_sgpr_workgroup_info 0
		.amdhsa_system_vgpr_workitem_id 1
		.amdhsa_next_free_vgpr 16
		.amdhsa_next_free_sgpr 21
		.amdhsa_reserve_vcc 1
		.amdhsa_reserve_flat_scratch 0
		.amdhsa_float_round_mode_32 0
		.amdhsa_float_round_mode_16_64 0
		.amdhsa_float_denorm_mode_32 3
		.amdhsa_float_denorm_mode_16_64 3
		.amdhsa_dx10_clamp 1
		.amdhsa_ieee_mode 1
		.amdhsa_fp16_overflow 0
		.amdhsa_exception_fp_ieee_invalid_op 0
		.amdhsa_exception_fp_denorm_src 0
		.amdhsa_exception_fp_ieee_div_zero 0
		.amdhsa_exception_fp_ieee_overflow 0
		.amdhsa_exception_fp_ieee_underflow 0
		.amdhsa_exception_fp_ieee_inexact 0
		.amdhsa_exception_int_div_zero 0
	.end_amdhsa_kernel
	.section	.text._ZN9rocsolver6v33100L14set_triangularI19rocblas_complex_numIfEPKPS3_TnNSt9enable_ifIX18rocblas_is_complexIT_EEiE4typeELi0EEEviiT0_iilPS8_lSC_il15rocblas_direct_15rocblas_storev_b,"axG",@progbits,_ZN9rocsolver6v33100L14set_triangularI19rocblas_complex_numIfEPKPS3_TnNSt9enable_ifIX18rocblas_is_complexIT_EEiE4typeELi0EEEviiT0_iilPS8_lSC_il15rocblas_direct_15rocblas_storev_b,comdat
.Lfunc_end40:
	.size	_ZN9rocsolver6v33100L14set_triangularI19rocblas_complex_numIfEPKPS3_TnNSt9enable_ifIX18rocblas_is_complexIT_EEiE4typeELi0EEEviiT0_iilPS8_lSC_il15rocblas_direct_15rocblas_storev_b, .Lfunc_end40-_ZN9rocsolver6v33100L14set_triangularI19rocblas_complex_numIfEPKPS3_TnNSt9enable_ifIX18rocblas_is_complexIT_EEiE4typeELi0EEEviiT0_iilPS8_lSC_il15rocblas_direct_15rocblas_storev_b
                                        ; -- End function
	.set _ZN9rocsolver6v33100L14set_triangularI19rocblas_complex_numIfEPKPS3_TnNSt9enable_ifIX18rocblas_is_complexIT_EEiE4typeELi0EEEviiT0_iilPS8_lSC_il15rocblas_direct_15rocblas_storev_b.num_vgpr, 16
	.set _ZN9rocsolver6v33100L14set_triangularI19rocblas_complex_numIfEPKPS3_TnNSt9enable_ifIX18rocblas_is_complexIT_EEiE4typeELi0EEEviiT0_iilPS8_lSC_il15rocblas_direct_15rocblas_storev_b.num_agpr, 0
	.set _ZN9rocsolver6v33100L14set_triangularI19rocblas_complex_numIfEPKPS3_TnNSt9enable_ifIX18rocblas_is_complexIT_EEiE4typeELi0EEEviiT0_iilPS8_lSC_il15rocblas_direct_15rocblas_storev_b.numbered_sgpr, 21
	.set _ZN9rocsolver6v33100L14set_triangularI19rocblas_complex_numIfEPKPS3_TnNSt9enable_ifIX18rocblas_is_complexIT_EEiE4typeELi0EEEviiT0_iilPS8_lSC_il15rocblas_direct_15rocblas_storev_b.num_named_barrier, 0
	.set _ZN9rocsolver6v33100L14set_triangularI19rocblas_complex_numIfEPKPS3_TnNSt9enable_ifIX18rocblas_is_complexIT_EEiE4typeELi0EEEviiT0_iilPS8_lSC_il15rocblas_direct_15rocblas_storev_b.private_seg_size, 0
	.set _ZN9rocsolver6v33100L14set_triangularI19rocblas_complex_numIfEPKPS3_TnNSt9enable_ifIX18rocblas_is_complexIT_EEiE4typeELi0EEEviiT0_iilPS8_lSC_il15rocblas_direct_15rocblas_storev_b.uses_vcc, 1
	.set _ZN9rocsolver6v33100L14set_triangularI19rocblas_complex_numIfEPKPS3_TnNSt9enable_ifIX18rocblas_is_complexIT_EEiE4typeELi0EEEviiT0_iilPS8_lSC_il15rocblas_direct_15rocblas_storev_b.uses_flat_scratch, 0
	.set _ZN9rocsolver6v33100L14set_triangularI19rocblas_complex_numIfEPKPS3_TnNSt9enable_ifIX18rocblas_is_complexIT_EEiE4typeELi0EEEviiT0_iilPS8_lSC_il15rocblas_direct_15rocblas_storev_b.has_dyn_sized_stack, 0
	.set _ZN9rocsolver6v33100L14set_triangularI19rocblas_complex_numIfEPKPS3_TnNSt9enable_ifIX18rocblas_is_complexIT_EEiE4typeELi0EEEviiT0_iilPS8_lSC_il15rocblas_direct_15rocblas_storev_b.has_recursion, 0
	.set _ZN9rocsolver6v33100L14set_triangularI19rocblas_complex_numIfEPKPS3_TnNSt9enable_ifIX18rocblas_is_complexIT_EEiE4typeELi0EEEviiT0_iilPS8_lSC_il15rocblas_direct_15rocblas_storev_b.has_indirect_call, 0
	.section	.AMDGPU.csdata,"",@progbits
; Kernel info:
; codeLenInByte = 2212
; TotalNumSgprs: 25
; NumVgprs: 16
; ScratchSize: 0
; MemoryBound: 0
; FloatMode: 240
; IeeeMode: 1
; LDSByteSize: 0 bytes/workgroup (compile time only)
; SGPRBlocks: 3
; VGPRBlocks: 3
; NumSGPRsForWavesPerEU: 25
; NumVGPRsForWavesPerEU: 16
; Occupancy: 10
; WaveLimiterHint : 1
; COMPUTE_PGM_RSRC2:SCRATCH_EN: 0
; COMPUTE_PGM_RSRC2:USER_SGPR: 6
; COMPUTE_PGM_RSRC2:TRAP_HANDLER: 0
; COMPUTE_PGM_RSRC2:TGID_X_EN: 1
; COMPUTE_PGM_RSRC2:TGID_Y_EN: 1
; COMPUTE_PGM_RSRC2:TGID_Z_EN: 1
; COMPUTE_PGM_RSRC2:TIDIG_COMP_CNT: 1
	.section	.text._ZN9rocsolver6v33100L7set_tauI19rocblas_complex_numIfEEEviPT_l,"axG",@progbits,_ZN9rocsolver6v33100L7set_tauI19rocblas_complex_numIfEEEviPT_l,comdat
	.globl	_ZN9rocsolver6v33100L7set_tauI19rocblas_complex_numIfEEEviPT_l ; -- Begin function _ZN9rocsolver6v33100L7set_tauI19rocblas_complex_numIfEEEviPT_l
	.p2align	8
	.type	_ZN9rocsolver6v33100L7set_tauI19rocblas_complex_numIfEEEviPT_l,@function
_ZN9rocsolver6v33100L7set_tauI19rocblas_complex_numIfEEEviPT_l: ; @_ZN9rocsolver6v33100L7set_tauI19rocblas_complex_numIfEEEviPT_l
; %bb.0:
	s_load_dword s0, s[4:5], 0x24
	s_load_dword s1, s[4:5], 0x0
	s_waitcnt lgkmcnt(0)
	s_and_b32 s0, s0, 0xffff
	s_mul_i32 s6, s6, s0
	v_add_u32_e32 v0, s6, v0
	v_cmp_gt_u32_e32 vcc, s1, v0
	s_and_saveexec_b64 s[0:1], vcc
	s_cbranch_execz .LBB41_2
; %bb.1:
	s_load_dwordx4 s[0:3], s[4:5], 0x8
	v_mov_b32_e32 v1, 0
	v_lshlrev_b64 v[0:1], 3, v[0:1]
	s_waitcnt lgkmcnt(0)
	s_mul_i32 s3, s3, s7
	s_mul_hi_u32 s4, s2, s7
	s_mul_i32 s2, s2, s7
	s_add_i32 s3, s4, s3
	s_lshl_b64 s[2:3], s[2:3], 3
	s_add_u32 s0, s0, s2
	s_addc_u32 s1, s1, s3
	v_mov_b32_e32 v2, s1
	v_add_co_u32_e32 v0, vcc, s0, v0
	v_addc_co_u32_e32 v1, vcc, v2, v1, vcc
	global_load_dwordx2 v[2:3], v[0:1], off
	s_waitcnt vmcnt(0)
	v_xor_b32_e32 v2, 0x80000000, v2
	v_xor_b32_e32 v3, 0x80000000, v3
	global_store_dwordx2 v[0:1], v[2:3], off
.LBB41_2:
	s_endpgm
	.section	.rodata,"a",@progbits
	.p2align	6, 0x0
	.amdhsa_kernel _ZN9rocsolver6v33100L7set_tauI19rocblas_complex_numIfEEEviPT_l
		.amdhsa_group_segment_fixed_size 0
		.amdhsa_private_segment_fixed_size 0
		.amdhsa_kernarg_size 280
		.amdhsa_user_sgpr_count 6
		.amdhsa_user_sgpr_private_segment_buffer 1
		.amdhsa_user_sgpr_dispatch_ptr 0
		.amdhsa_user_sgpr_queue_ptr 0
		.amdhsa_user_sgpr_kernarg_segment_ptr 1
		.amdhsa_user_sgpr_dispatch_id 0
		.amdhsa_user_sgpr_flat_scratch_init 0
		.amdhsa_user_sgpr_private_segment_size 0
		.amdhsa_uses_dynamic_stack 0
		.amdhsa_system_sgpr_private_segment_wavefront_offset 0
		.amdhsa_system_sgpr_workgroup_id_x 1
		.amdhsa_system_sgpr_workgroup_id_y 1
		.amdhsa_system_sgpr_workgroup_id_z 0
		.amdhsa_system_sgpr_workgroup_info 0
		.amdhsa_system_vgpr_workitem_id 0
		.amdhsa_next_free_vgpr 4
		.amdhsa_next_free_sgpr 8
		.amdhsa_reserve_vcc 1
		.amdhsa_reserve_flat_scratch 0
		.amdhsa_float_round_mode_32 0
		.amdhsa_float_round_mode_16_64 0
		.amdhsa_float_denorm_mode_32 3
		.amdhsa_float_denorm_mode_16_64 3
		.amdhsa_dx10_clamp 1
		.amdhsa_ieee_mode 1
		.amdhsa_fp16_overflow 0
		.amdhsa_exception_fp_ieee_invalid_op 0
		.amdhsa_exception_fp_denorm_src 0
		.amdhsa_exception_fp_ieee_div_zero 0
		.amdhsa_exception_fp_ieee_overflow 0
		.amdhsa_exception_fp_ieee_underflow 0
		.amdhsa_exception_fp_ieee_inexact 0
		.amdhsa_exception_int_div_zero 0
	.end_amdhsa_kernel
	.section	.text._ZN9rocsolver6v33100L7set_tauI19rocblas_complex_numIfEEEviPT_l,"axG",@progbits,_ZN9rocsolver6v33100L7set_tauI19rocblas_complex_numIfEEEviPT_l,comdat
.Lfunc_end41:
	.size	_ZN9rocsolver6v33100L7set_tauI19rocblas_complex_numIfEEEviPT_l, .Lfunc_end41-_ZN9rocsolver6v33100L7set_tauI19rocblas_complex_numIfEEEviPT_l
                                        ; -- End function
	.set _ZN9rocsolver6v33100L7set_tauI19rocblas_complex_numIfEEEviPT_l.num_vgpr, 4
	.set _ZN9rocsolver6v33100L7set_tauI19rocblas_complex_numIfEEEviPT_l.num_agpr, 0
	.set _ZN9rocsolver6v33100L7set_tauI19rocblas_complex_numIfEEEviPT_l.numbered_sgpr, 8
	.set _ZN9rocsolver6v33100L7set_tauI19rocblas_complex_numIfEEEviPT_l.num_named_barrier, 0
	.set _ZN9rocsolver6v33100L7set_tauI19rocblas_complex_numIfEEEviPT_l.private_seg_size, 0
	.set _ZN9rocsolver6v33100L7set_tauI19rocblas_complex_numIfEEEviPT_l.uses_vcc, 1
	.set _ZN9rocsolver6v33100L7set_tauI19rocblas_complex_numIfEEEviPT_l.uses_flat_scratch, 0
	.set _ZN9rocsolver6v33100L7set_tauI19rocblas_complex_numIfEEEviPT_l.has_dyn_sized_stack, 0
	.set _ZN9rocsolver6v33100L7set_tauI19rocblas_complex_numIfEEEviPT_l.has_recursion, 0
	.set _ZN9rocsolver6v33100L7set_tauI19rocblas_complex_numIfEEEviPT_l.has_indirect_call, 0
	.section	.AMDGPU.csdata,"",@progbits
; Kernel info:
; codeLenInByte = 152
; TotalNumSgprs: 12
; NumVgprs: 4
; ScratchSize: 0
; MemoryBound: 0
; FloatMode: 240
; IeeeMode: 1
; LDSByteSize: 0 bytes/workgroup (compile time only)
; SGPRBlocks: 1
; VGPRBlocks: 0
; NumSGPRsForWavesPerEU: 12
; NumVGPRsForWavesPerEU: 4
; Occupancy: 10
; WaveLimiterHint : 0
; COMPUTE_PGM_RSRC2:SCRATCH_EN: 0
; COMPUTE_PGM_RSRC2:USER_SGPR: 6
; COMPUTE_PGM_RSRC2:TRAP_HANDLER: 0
; COMPUTE_PGM_RSRC2:TGID_X_EN: 1
; COMPUTE_PGM_RSRC2:TGID_Y_EN: 1
; COMPUTE_PGM_RSRC2:TGID_Z_EN: 0
; COMPUTE_PGM_RSRC2:TIDIG_COMP_CNT: 0
	.section	.text._ZN9rocsolver6v33100L20larft_kernel_forwardI19rocblas_complex_numIfEPKPS3_EEv15rocblas_storev_iiT0_iilPT_lSA_il,"axG",@progbits,_ZN9rocsolver6v33100L20larft_kernel_forwardI19rocblas_complex_numIfEPKPS3_EEv15rocblas_storev_iiT0_iilPT_lSA_il,comdat
	.globl	_ZN9rocsolver6v33100L20larft_kernel_forwardI19rocblas_complex_numIfEPKPS3_EEv15rocblas_storev_iiT0_iilPT_lSA_il ; -- Begin function _ZN9rocsolver6v33100L20larft_kernel_forwardI19rocblas_complex_numIfEPKPS3_EEv15rocblas_storev_iiT0_iilPT_lSA_il
	.p2align	8
	.type	_ZN9rocsolver6v33100L20larft_kernel_forwardI19rocblas_complex_numIfEPKPS3_EEv15rocblas_storev_iiT0_iilPT_lSA_il,@function
_ZN9rocsolver6v33100L20larft_kernel_forwardI19rocblas_complex_numIfEPKPS3_EEv15rocblas_storev_iiT0_iilPT_lSA_il: ; @_ZN9rocsolver6v33100L20larft_kernel_forwardI19rocblas_complex_numIfEPKPS3_EEv15rocblas_storev_iiT0_iilPT_lSA_il
; %bb.0:
	s_mov_b32 s2, s7
	s_load_dword s33, s[4:5], 0x40
	s_load_dwordx2 s[0:1], s[4:5], 0x48
	s_load_dword s3, s[4:5], 0x5c
	s_load_dwordx4 s[8:11], s[4:5], 0x0
	s_load_dwordx2 s[6:7], s[4:5], 0x10
	s_load_dwordx4 s[12:15], s[4:5], 0x28
	s_load_dwordx2 s[16:17], s[4:5], 0x38
	s_waitcnt lgkmcnt(0)
	s_and_b32 s11, s3, 0xffff
	s_ashr_i32 s3, s2, 31
	s_lshl_b64 s[18:19], s[2:3], 3
	s_add_u32 s6, s6, s18
	s_addc_u32 s7, s7, s19
	s_mul_hi_u32 s18, s0, s2
	s_mul_i32 s19, s0, s3
	s_load_dwordx2 s[6:7], s[6:7], 0x0
	s_add_i32 s18, s18, s19
	s_mul_i32 s1, s1, s2
	s_add_i32 s1, s18, s1
	s_mul_i32 s0, s0, s2
	s_lshl_b64 s[0:1], s[0:1], 3
	s_add_u32 s38, s16, s0
	s_addc_u32 s39, s17, s1
	v_cmp_gt_i32_e64 s[0:1], s10, v0
	v_lshlrev_b32_e32 v6, 3, v0
	s_and_saveexec_b64 s[16:17], s[0:1]
	s_cbranch_execz .LBB42_5
; %bb.1:
	v_add_u32_e32 v1, 8, v6
	v_mul_lo_u32 v1, s10, v1
	s_lshl_b32 s22, s10, 3
	s_add_i32 s23, s22, 8
	s_add_i32 s24, s33, 1
	v_add3_u32 v4, v1, v6, 0
	v_mad_u64_u32 v[1:2], s[18:19], v0, s33, v[0:1]
	s_mul_i32 s23, s23, s11
	s_mul_i32 s24, s24, s11
	s_mov_b64 s[18:19], 0
	v_mov_b32_e32 v5, s39
	v_mov_b32_e32 v7, v0
.LBB42_2:                               ; =>This Loop Header: Depth=1
                                        ;     Child Loop BB42_3 Depth 2
	s_mov_b64 s[20:21], 0
	v_mov_b32_e32 v2, v1
	v_mov_b32_e32 v8, v4
	;; [unrolled: 1-line block ×3, first 2 shown]
.LBB42_3:                               ;   Parent Loop BB42_2 Depth=1
                                        ; =>  This Inner Loop Header: Depth=2
	v_ashrrev_i32_e32 v3, 31, v2
	v_lshlrev_b64 v[10:11], 3, v[2:3]
	v_add_u32_e32 v9, 1, v9
	v_add_co_u32_e32 v10, vcc, s38, v10
	v_addc_co_u32_e32 v11, vcc, v5, v11, vcc
	global_load_dwordx2 v[10:11], v[10:11], off
	v_cmp_le_i32_e32 vcc, s10, v9
	v_add_u32_e32 v2, s33, v2
	s_or_b64 s[20:21], vcc, s[20:21]
	s_waitcnt vmcnt(0)
	ds_write_b64 v8, v[10:11]
	v_add_u32_e32 v8, s22, v8
	s_andn2_b64 exec, exec, s[20:21]
	s_cbranch_execnz .LBB42_3
; %bb.4:                                ;   in Loop: Header=BB42_2 Depth=1
	s_or_b64 exec, exec, s[20:21]
	v_add_u32_e32 v7, s11, v7
	v_cmp_le_i32_e32 vcc, s10, v7
	v_add_u32_e32 v4, s23, v4
	s_or_b64 s[18:19], vcc, s[18:19]
	v_add_u32_e32 v1, s24, v1
	s_andn2_b64 exec, exec, s[18:19]
	s_cbranch_execnz .LBB42_2
.LBB42_5:
	s_or_b64 exec, exec, s[16:17]
	s_cmp_lt_i32 s10, 2
	s_waitcnt lgkmcnt(0)
	s_barrier
	s_cbranch_scc1 .LBB42_31
; %bb.6:
	s_load_dwordx2 s[4:5], s[4:5], 0x18
	s_mul_i32 s3, s14, s3
	s_mul_hi_u32 s20, s14, s2
	v_add_u32_e32 v3, 8, v6
	v_mul_lo_u32 v3, s10, v3
	s_waitcnt lgkmcnt(0)
	s_ashr_i32 s17, s4, 31
	s_mov_b32 s16, s4
	s_lshl_b64 s[16:17], s[16:17], 3
	s_add_u32 s18, s6, s16
	s_addc_u32 s19, s7, s17
	s_add_i32 s3, s20, s3
	s_mul_i32 s4, s15, s2
	s_add_i32 s3, s3, s4
	s_mul_i32 s2, s14, s2
	s_lshl_b64 s[2:3], s[2:3], 3
	s_add_u32 s4, s12, s2
	s_addc_u32 s40, s13, s3
	s_lshl_b32 s41, s10, 3
	s_add_i32 s42, s41, 0
	v_mul_lo_u32 v7, v0, s5
	s_cmpk_lg_i32 s8, 0xb5
	s_cselect_b64 s[14:15], -1, 0
	s_ashr_i32 s3, s5, 31
	s_mov_b32 s2, s5
	v_mov_b32_e32 v2, s17
	v_add_co_u32_e32 v1, vcc, s16, v6
	s_add_i32 s45, s41, 8
	s_mov_b32 s13, 0
	s_add_i32 s8, s9, -2
	s_mov_b32 s12, 1
	s_lshl_b32 s20, s5, 1
	s_lshl_b64 s[22:23], s[2:3], 3
	v_addc_co_u32_e32 v2, vcc, 0, v2, vcc
	s_lshl_b32 s43, s11, 3
	s_mul_i32 s44, s5, s11
	v_add3_u32 v8, v3, v6, 0
	s_mul_i32 s45, s45, s11
	v_add_u32_e32 v9, 0, v6
	s_mov_b32 s24, s5
	s_branch .LBB42_8
.LBB42_7:                               ;   in Loop: Header=BB42_8 Depth=1
	s_or_b64 exec, exec, s[2:3]
	s_add_i32 s12, s12, 1
	s_add_i32 s8, s8, -1
	s_add_u32 s16, s16, 8
	s_addc_u32 s17, s17, 0
	s_add_i32 s20, s20, s5
	s_add_u32 s18, s18, 8
	s_addc_u32 s19, s19, 0
	s_add_i32 s24, s24, s5
	s_cmp_eq_u32 s12, s10
	s_waitcnt lgkmcnt(0)
	s_barrier
	s_cbranch_scc1 .LBB42_31
.LBB42_8:                               ; =>This Loop Header: Depth=1
                                        ;     Child Loop BB42_13 Depth 2
                                        ;       Child Loop BB42_15 Depth 3
                                        ;     Child Loop BB42_22 Depth 2
                                        ;       Child Loop BB42_24 Depth 3
	;; [unrolled: 2-line block ×3, first 2 shown]
	s_not_b32 s2, s12
	s_add_i32 s47, s9, s2
	s_mul_i32 s2, s12, s10
	s_lshl_b32 s2, s2, 3
	s_add_i32 s46, s42, s2
	s_mov_b64 s[26:27], -1
	s_and_b64 vcc, exec, s[14:15]
	v_cmp_gt_u32_e64 s[2:3], s12, v0
	s_cbranch_vccz .LBB42_17
; %bb.9:                                ;   in Loop: Header=BB42_8 Depth=1
	s_and_saveexec_b64 s[26:27], s[2:3]
	s_cbranch_execz .LBB42_16
; %bb.10:                               ;   in Loop: Header=BB42_8 Depth=1
	s_ashr_i32 s21, s20, 31
	s_lshl_b64 s[2:3], s[20:21], 3
	s_add_u32 s28, s6, s2
	s_addc_u32 s29, s7, s3
	s_cmp_gt_i32 s47, 0
	s_cselect_b64 s[2:3], -1, 0
	s_lshl_b64 s[30:31], s[12:13], 3
	s_add_u32 s34, s4, s30
	s_addc_u32 s35, s40, s31
	s_load_dwordx2 s[30:31], s[34:35], 0x0
	v_cndmask_b32_e64 v3, 0, 1, s[2:3]
	v_cmp_ne_u32_e64 s[2:3], 1, v3
	v_mov_b32_e32 v4, v2
	s_mov_b64 s[34:35], 0
	v_mov_b32_e32 v3, v1
	v_mov_b32_e32 v5, v0
	s_branch .LBB42_13
.LBB42_11:                              ;   in Loop: Header=BB42_13 Depth=2
	v_mov_b32_e32 v11, 0
.LBB42_12:                              ;   in Loop: Header=BB42_13 Depth=2
	v_lshlrev_b32_e32 v14, 3, v5
	v_add_u32_e32 v12, s46, v14
	ds_read_b64 v[12:13], v12
	v_add_u32_e32 v5, s11, v5
	s_waitcnt lgkmcnt(0)
	v_mul_f32_e32 v15, s31, v10
	v_mul_f32_e32 v16, s31, v11
	v_cmp_le_u32_e32 vcc, s12, v5
	v_fma_f32 v11, v11, s30, -v15
	v_fmac_f32_e32 v16, s30, v10
	s_or_b64 s[34:35], vcc, s[34:35]
	v_add_co_u32_e32 v3, vcc, s43, v3
	v_add_f32_e32 v10, v12, v11
	v_add_f32_e32 v11, v13, v16
	v_add_u32_e32 v12, 0, v14
	v_addc_co_u32_e32 v4, vcc, 0, v4, vcc
	ds_write_b64 v12, v[10:11]
	s_andn2_b64 exec, exec, s[34:35]
	s_cbranch_execz .LBB42_16
.LBB42_13:                              ;   Parent Loop BB42_8 Depth=1
                                        ; =>  This Loop Header: Depth=2
                                        ;       Child Loop BB42_15 Depth 3
	v_mov_b32_e32 v10, 0
	s_and_b64 vcc, exec, s[2:3]
	s_cbranch_vccnz .LBB42_11
; %bb.14:                               ;   in Loop: Header=BB42_13 Depth=2
	s_mov_b32 s21, 0
	s_mov_b64 s[36:37], s[28:29]
	v_mov_b32_e32 v11, 0
.LBB42_15:                              ;   Parent Loop BB42_8 Depth=1
                                        ;     Parent Loop BB42_13 Depth=2
                                        ; =>    This Inner Loop Header: Depth=3
	s_add_u32 s48, s36, s16
	s_addc_u32 s49, s37, s17
	v_mov_b32_e32 v14, s48
	v_mov_b32_e32 v13, s37
	v_add_co_u32_e32 v12, vcc, s36, v3
	v_mov_b32_e32 v15, s49
	v_addc_co_u32_e32 v13, vcc, v13, v4, vcc
	flat_load_dwordx2 v[16:17], v[14:15] offset:8
	flat_load_dwordx2 v[18:19], v[12:13]
	s_add_i32 s21, s21, 1
	s_add_u32 s36, s36, s22
	s_addc_u32 s37, s37, s23
	s_cmp_eq_u32 s8, s21
	s_waitcnt vmcnt(0) lgkmcnt(0)
	v_mul_f32_e32 v12, v17, v19
	v_mul_f32_e32 v13, v17, v18
	v_fmac_f32_e32 v12, v16, v18
	v_fma_f32 v13, v16, v19, -v13
	v_add_f32_e32 v11, v11, v12
	v_add_f32_e32 v10, v10, v13
	s_cbranch_scc0 .LBB42_15
	s_branch .LBB42_12
.LBB42_16:                              ;   in Loop: Header=BB42_8 Depth=1
	s_or_b64 exec, exec, s[26:27]
	s_mov_b64 s[26:27], 0
.LBB42_17:                              ;   in Loop: Header=BB42_8 Depth=1
	s_andn2_b64 vcc, exec, s[26:27]
	s_cbranch_vccnz .LBB42_26
; %bb.18:                               ;   in Loop: Header=BB42_8 Depth=1
	v_cmp_gt_u32_e32 vcc, s12, v0
	s_and_saveexec_b64 s[2:3], vcc
	s_cbranch_execz .LBB42_25
; %bb.19:                               ;   in Loop: Header=BB42_8 Depth=1
	s_ashr_i32 s25, s24, 31
	s_lshl_b64 s[26:27], s[24:25], 3
	s_cmp_gt_i32 s47, 0
	s_cselect_b64 s[28:29], -1, 0
	s_lshl_b64 s[30:31], s[12:13], 3
	s_add_u32 s34, s4, s30
	s_addc_u32 s35, s40, s31
	s_load_dwordx2 s[30:31], s[34:35], 0x0
	s_mov_b64 s[34:35], 0
	v_mov_b32_e32 v3, v7
	v_mov_b32_e32 v10, v0
	s_branch .LBB42_22
.LBB42_20:                              ;   in Loop: Header=BB42_22 Depth=2
	v_mov_b32_e32 v11, 0
	v_mov_b32_e32 v12, 0
.LBB42_21:                              ;   in Loop: Header=BB42_22 Depth=2
	v_lshlrev_b32_e32 v13, 3, v10
	v_add_u32_e32 v4, s46, v13
	ds_read_b64 v[4:5], v4
	s_waitcnt lgkmcnt(0)
	v_mul_f32_e32 v14, s31, v11
	v_mul_f32_e32 v15, s31, v12
	v_add_u32_e32 v10, s11, v10
	v_fma_f32 v12, v12, s30, -v14
	v_fmac_f32_e32 v15, s30, v11
	v_cmp_le_u32_e32 vcc, s12, v10
	v_add_f32_e32 v4, v4, v12
	v_add_f32_e32 v5, v5, v15
	v_add_u32_e32 v11, 0, v13
	s_or_b64 s[34:35], vcc, s[34:35]
	v_add_u32_e32 v3, s44, v3
	ds_write_b64 v11, v[4:5]
	s_andn2_b64 exec, exec, s[34:35]
	s_cbranch_execz .LBB42_25
.LBB42_22:                              ;   Parent Loop BB42_8 Depth=1
                                        ; =>  This Loop Header: Depth=2
                                        ;       Child Loop BB42_24 Depth 3
	s_andn2_b64 vcc, exec, s[28:29]
	s_cbranch_vccnz .LBB42_20
; %bb.23:                               ;   in Loop: Header=BB42_22 Depth=2
	v_ashrrev_i32_e32 v4, 31, v3
	v_lshlrev_b64 v[4:5], 3, v[3:4]
	v_mov_b32_e32 v11, 0
	s_mov_b32 s21, 0
	s_mov_b64 s[36:37], s[18:19]
	v_mov_b32_e32 v12, 0
.LBB42_24:                              ;   Parent Loop BB42_8 Depth=1
                                        ;     Parent Loop BB42_22 Depth=2
                                        ; =>    This Inner Loop Header: Depth=3
	v_mov_b32_e32 v14, s37
	s_add_u32 s48, s36, s26
	v_add_co_u32_e32 v13, vcc, s36, v4
	v_addc_co_u32_e32 v14, vcc, v14, v5, vcc
	s_addc_u32 s49, s37, s27
	v_mov_b32_e32 v15, s48
	v_mov_b32_e32 v16, s49
	flat_load_dwordx2 v[17:18], v[13:14] offset:16
	flat_load_dwordx2 v[19:20], v[15:16] offset:16
	s_add_i32 s21, s21, 1
	s_add_u32 s36, s36, 8
	s_addc_u32 s37, s37, 0
	s_cmp_eq_u32 s8, s21
	s_waitcnt vmcnt(0) lgkmcnt(0)
	v_mul_f32_e32 v13, v18, v20
	v_mul_f32_e32 v14, v18, v19
	v_fmac_f32_e32 v13, v17, v19
	v_fma_f32 v14, v17, v20, -v14
	v_add_f32_e32 v12, v12, v13
	v_add_f32_e32 v11, v11, v14
	s_cbranch_scc0 .LBB42_24
	s_branch .LBB42_21
.LBB42_25:                              ;   in Loop: Header=BB42_8 Depth=1
	s_or_b64 exec, exec, s[2:3]
.LBB42_26:                              ;   in Loop: Header=BB42_8 Depth=1
	v_cmp_gt_u32_e32 vcc, s12, v0
	s_waitcnt lgkmcnt(0)
	s_barrier
	s_and_saveexec_b64 s[2:3], vcc
	s_cbranch_execz .LBB42_7
; %bb.27:                               ;   in Loop: Header=BB42_8 Depth=1
	s_mov_b64 s[26:27], 0
	v_mov_b32_e32 v5, v9
	v_mov_b32_e32 v10, v8
	;; [unrolled: 1-line block ×3, first 2 shown]
.LBB42_28:                              ;   Parent Loop BB42_8 Depth=1
                                        ; =>  This Loop Header: Depth=2
                                        ;       Child Loop BB42_29 Depth 3
	v_mov_b32_e32 v3, 0
	s_mov_b64 s[28:29], 0
	v_mov_b32_e32 v12, v5
	v_mov_b32_e32 v13, v10
	;; [unrolled: 1-line block ×4, first 2 shown]
.LBB42_29:                              ;   Parent Loop BB42_8 Depth=1
                                        ;     Parent Loop BB42_28 Depth=2
                                        ; =>    This Inner Loop Header: Depth=3
	ds_read_b64 v[15:16], v13
	ds_read_b64 v[17:18], v12
	v_add_u32_e32 v14, 1, v14
	v_cmp_le_u32_e32 vcc, s12, v14
	v_add_u32_e32 v13, s41, v13
	v_add_u32_e32 v12, 8, v12
	s_waitcnt lgkmcnt(0)
	v_mul_f32_e32 v19, v18, v16
	v_mul_f32_e32 v16, v17, v16
	v_fma_f32 v17, v17, v15, -v19
	v_fmac_f32_e32 v16, v18, v15
	s_or_b64 s[28:29], vcc, s[28:29]
	v_add_f32_e32 v3, v3, v17
	v_add_f32_e32 v4, v4, v16
	s_andn2_b64 exec, exec, s[28:29]
	s_cbranch_execnz .LBB42_29
; %bb.30:                               ;   in Loop: Header=BB42_28 Depth=2
	s_or_b64 exec, exec, s[28:29]
	v_lshl_add_u32 v12, v11, 3, s46
	v_add_u32_e32 v11, s11, v11
	v_cmp_le_u32_e32 vcc, s12, v11
	v_add_u32_e32 v10, s45, v10
	s_or_b64 s[26:27], vcc, s[26:27]
	v_add_u32_e32 v5, s43, v5
	ds_write_b64 v12, v[3:4]
	s_andn2_b64 exec, exec, s[26:27]
	s_cbranch_execnz .LBB42_28
	s_branch .LBB42_7
.LBB42_31:
	s_and_saveexec_b64 s[2:3], s[0:1]
	s_cbranch_execz .LBB42_36
; %bb.32:
	v_add_u32_e32 v1, 8, v6
	v_mul_lo_u32 v3, s10, v1
	v_mad_u64_u32 v[1:2], s[0:1], v0, s33, v[0:1]
	s_lshl_b32 s5, s10, 3
	s_add_i32 s4, s33, 1
	s_add_i32 s6, s5, 8
	s_mul_i32 s4, s4, s11
	v_add3_u32 v4, v3, v6, 0
	s_mul_i32 s6, s6, s11
	s_mov_b64 s[0:1], 0
	v_mov_b32_e32 v5, s39
.LBB42_33:                              ; =>This Loop Header: Depth=1
                                        ;     Child Loop BB42_34 Depth 2
	s_mov_b64 s[2:3], 0
	v_mov_b32_e32 v6, v4
	v_mov_b32_e32 v2, v1
	;; [unrolled: 1-line block ×3, first 2 shown]
.LBB42_34:                              ;   Parent Loop BB42_33 Depth=1
                                        ; =>  This Inner Loop Header: Depth=2
	v_ashrrev_i32_e32 v3, 31, v2
	ds_read_b64 v[8:9], v6
	v_add_u32_e32 v7, 1, v7
	v_lshlrev_b64 v[10:11], 3, v[2:3]
	v_cmp_le_i32_e32 vcc, s10, v7
	s_or_b64 s[2:3], vcc, s[2:3]
	v_add_co_u32_e32 v10, vcc, s38, v10
	v_add_u32_e32 v6, s5, v6
	v_add_u32_e32 v2, s33, v2
	v_addc_co_u32_e32 v11, vcc, v5, v11, vcc
	s_waitcnt lgkmcnt(0)
	global_store_dwordx2 v[10:11], v[8:9], off
	s_andn2_b64 exec, exec, s[2:3]
	s_cbranch_execnz .LBB42_34
; %bb.35:                               ;   in Loop: Header=BB42_33 Depth=1
	s_or_b64 exec, exec, s[2:3]
	v_add_u32_e32 v0, s11, v0
	v_cmp_le_i32_e32 vcc, s10, v0
	v_add_u32_e32 v1, s4, v1
	s_or_b64 s[0:1], vcc, s[0:1]
	v_add_u32_e32 v4, s6, v4
	s_andn2_b64 exec, exec, s[0:1]
	s_cbranch_execnz .LBB42_33
.LBB42_36:
	s_endpgm
	.section	.rodata,"a",@progbits
	.p2align	6, 0x0
	.amdhsa_kernel _ZN9rocsolver6v33100L20larft_kernel_forwardI19rocblas_complex_numIfEPKPS3_EEv15rocblas_storev_iiT0_iilPT_lSA_il
		.amdhsa_group_segment_fixed_size 0
		.amdhsa_private_segment_fixed_size 0
		.amdhsa_kernarg_size 336
		.amdhsa_user_sgpr_count 6
		.amdhsa_user_sgpr_private_segment_buffer 1
		.amdhsa_user_sgpr_dispatch_ptr 0
		.amdhsa_user_sgpr_queue_ptr 0
		.amdhsa_user_sgpr_kernarg_segment_ptr 1
		.amdhsa_user_sgpr_dispatch_id 0
		.amdhsa_user_sgpr_flat_scratch_init 0
		.amdhsa_user_sgpr_private_segment_size 0
		.amdhsa_uses_dynamic_stack 0
		.amdhsa_system_sgpr_private_segment_wavefront_offset 0
		.amdhsa_system_sgpr_workgroup_id_x 1
		.amdhsa_system_sgpr_workgroup_id_y 1
		.amdhsa_system_sgpr_workgroup_id_z 0
		.amdhsa_system_sgpr_workgroup_info 0
		.amdhsa_system_vgpr_workitem_id 0
		.amdhsa_next_free_vgpr 21
		.amdhsa_next_free_sgpr 50
		.amdhsa_reserve_vcc 1
		.amdhsa_reserve_flat_scratch 0
		.amdhsa_float_round_mode_32 0
		.amdhsa_float_round_mode_16_64 0
		.amdhsa_float_denorm_mode_32 3
		.amdhsa_float_denorm_mode_16_64 3
		.amdhsa_dx10_clamp 1
		.amdhsa_ieee_mode 1
		.amdhsa_fp16_overflow 0
		.amdhsa_exception_fp_ieee_invalid_op 0
		.amdhsa_exception_fp_denorm_src 0
		.amdhsa_exception_fp_ieee_div_zero 0
		.amdhsa_exception_fp_ieee_overflow 0
		.amdhsa_exception_fp_ieee_underflow 0
		.amdhsa_exception_fp_ieee_inexact 0
		.amdhsa_exception_int_div_zero 0
	.end_amdhsa_kernel
	.section	.text._ZN9rocsolver6v33100L20larft_kernel_forwardI19rocblas_complex_numIfEPKPS3_EEv15rocblas_storev_iiT0_iilPT_lSA_il,"axG",@progbits,_ZN9rocsolver6v33100L20larft_kernel_forwardI19rocblas_complex_numIfEPKPS3_EEv15rocblas_storev_iiT0_iilPT_lSA_il,comdat
.Lfunc_end42:
	.size	_ZN9rocsolver6v33100L20larft_kernel_forwardI19rocblas_complex_numIfEPKPS3_EEv15rocblas_storev_iiT0_iilPT_lSA_il, .Lfunc_end42-_ZN9rocsolver6v33100L20larft_kernel_forwardI19rocblas_complex_numIfEPKPS3_EEv15rocblas_storev_iiT0_iilPT_lSA_il
                                        ; -- End function
	.set _ZN9rocsolver6v33100L20larft_kernel_forwardI19rocblas_complex_numIfEPKPS3_EEv15rocblas_storev_iiT0_iilPT_lSA_il.num_vgpr, 21
	.set _ZN9rocsolver6v33100L20larft_kernel_forwardI19rocblas_complex_numIfEPKPS3_EEv15rocblas_storev_iiT0_iilPT_lSA_il.num_agpr, 0
	.set _ZN9rocsolver6v33100L20larft_kernel_forwardI19rocblas_complex_numIfEPKPS3_EEv15rocblas_storev_iiT0_iilPT_lSA_il.numbered_sgpr, 50
	.set _ZN9rocsolver6v33100L20larft_kernel_forwardI19rocblas_complex_numIfEPKPS3_EEv15rocblas_storev_iiT0_iilPT_lSA_il.num_named_barrier, 0
	.set _ZN9rocsolver6v33100L20larft_kernel_forwardI19rocblas_complex_numIfEPKPS3_EEv15rocblas_storev_iiT0_iilPT_lSA_il.private_seg_size, 0
	.set _ZN9rocsolver6v33100L20larft_kernel_forwardI19rocblas_complex_numIfEPKPS3_EEv15rocblas_storev_iiT0_iilPT_lSA_il.uses_vcc, 1
	.set _ZN9rocsolver6v33100L20larft_kernel_forwardI19rocblas_complex_numIfEPKPS3_EEv15rocblas_storev_iiT0_iilPT_lSA_il.uses_flat_scratch, 0
	.set _ZN9rocsolver6v33100L20larft_kernel_forwardI19rocblas_complex_numIfEPKPS3_EEv15rocblas_storev_iiT0_iilPT_lSA_il.has_dyn_sized_stack, 0
	.set _ZN9rocsolver6v33100L20larft_kernel_forwardI19rocblas_complex_numIfEPKPS3_EEv15rocblas_storev_iiT0_iilPT_lSA_il.has_recursion, 0
	.set _ZN9rocsolver6v33100L20larft_kernel_forwardI19rocblas_complex_numIfEPKPS3_EEv15rocblas_storev_iiT0_iilPT_lSA_il.has_indirect_call, 0
	.section	.AMDGPU.csdata,"",@progbits
; Kernel info:
; codeLenInByte = 1608
; TotalNumSgprs: 54
; NumVgprs: 21
; ScratchSize: 0
; MemoryBound: 0
; FloatMode: 240
; IeeeMode: 1
; LDSByteSize: 0 bytes/workgroup (compile time only)
; SGPRBlocks: 6
; VGPRBlocks: 5
; NumSGPRsForWavesPerEU: 54
; NumVGPRsForWavesPerEU: 21
; Occupancy: 10
; WaveLimiterHint : 0
; COMPUTE_PGM_RSRC2:SCRATCH_EN: 0
; COMPUTE_PGM_RSRC2:USER_SGPR: 6
; COMPUTE_PGM_RSRC2:TRAP_HANDLER: 0
; COMPUTE_PGM_RSRC2:TGID_X_EN: 1
; COMPUTE_PGM_RSRC2:TGID_Y_EN: 1
; COMPUTE_PGM_RSRC2:TGID_Z_EN: 0
; COMPUTE_PGM_RSRC2:TIDIG_COMP_CNT: 0
	.section	.text._ZN9rocsolver6v33100L21larft_kernel_backwardI19rocblas_complex_numIfEPKPS3_EEv15rocblas_storev_iiT0_iilPT_lSA_il,"axG",@progbits,_ZN9rocsolver6v33100L21larft_kernel_backwardI19rocblas_complex_numIfEPKPS3_EEv15rocblas_storev_iiT0_iilPT_lSA_il,comdat
	.globl	_ZN9rocsolver6v33100L21larft_kernel_backwardI19rocblas_complex_numIfEPKPS3_EEv15rocblas_storev_iiT0_iilPT_lSA_il ; -- Begin function _ZN9rocsolver6v33100L21larft_kernel_backwardI19rocblas_complex_numIfEPKPS3_EEv15rocblas_storev_iiT0_iilPT_lSA_il
	.p2align	8
	.type	_ZN9rocsolver6v33100L21larft_kernel_backwardI19rocblas_complex_numIfEPKPS3_EEv15rocblas_storev_iiT0_iilPT_lSA_il,@function
_ZN9rocsolver6v33100L21larft_kernel_backwardI19rocblas_complex_numIfEPKPS3_EEv15rocblas_storev_iiT0_iilPT_lSA_il: ; @_ZN9rocsolver6v33100L21larft_kernel_backwardI19rocblas_complex_numIfEPKPS3_EEv15rocblas_storev_iiT0_iilPT_lSA_il
; %bb.0:
	s_mov_b32 s6, s7
	s_load_dword s28, s[4:5], 0x40
	s_load_dwordx2 s[0:1], s[4:5], 0x48
	s_load_dword s7, s[4:5], 0x5c
	s_load_dwordx4 s[8:11], s[4:5], 0x0
	s_load_dwordx2 s[2:3], s[4:5], 0x10
	s_load_dwordx4 s[12:15], s[4:5], 0x28
	s_load_dwordx2 s[16:17], s[4:5], 0x38
	s_waitcnt lgkmcnt(0)
	s_and_b32 s11, s7, 0xffff
	s_ashr_i32 s7, s6, 31
	s_lshl_b64 s[18:19], s[6:7], 3
	s_add_u32 s2, s2, s18
	s_addc_u32 s3, s3, s19
	s_mul_hi_u32 s18, s0, s6
	s_mul_i32 s19, s0, s7
	s_load_dwordx2 s[2:3], s[2:3], 0x0
	s_add_i32 s18, s18, s19
	s_mul_i32 s1, s1, s6
	s_add_i32 s1, s18, s1
	s_mul_i32 s0, s0, s6
	s_lshl_b64 s[0:1], s[0:1], 3
	s_add_u32 s29, s16, s0
	s_addc_u32 s30, s17, s1
	v_cmp_gt_i32_e64 s[0:1], s10, v0
	v_add_u32_e32 v6, 1, v0
	s_and_saveexec_b64 s[16:17], s[0:1]
	s_cbranch_execz .LBB43_5
; %bb.1:
	s_lshl_b32 s22, s10, 3
	s_add_i32 s18, s22, 0
	v_add_u32_e32 v3, 1, v0
	v_lshl_add_u32 v4, v0, 3, s18
	s_lshl_b32 s23, s11, 3
	s_mov_b64 s[18:19], 0
	v_mov_b32_e32 v5, s30
	v_mov_b32_e32 v7, v0
.LBB43_2:                               ; =>This Loop Header: Depth=1
                                        ;     Child Loop BB43_3 Depth 2
	s_mov_b64 s[20:21], 0
	v_mov_b32_e32 v1, v7
	v_mov_b32_e32 v8, v4
	s_mov_b32 s24, 0
.LBB43_3:                               ;   Parent Loop BB43_2 Depth=1
                                        ; =>  This Inner Loop Header: Depth=2
	v_ashrrev_i32_e32 v2, 31, v1
	v_lshlrev_b64 v[9:10], 3, v[1:2]
	s_add_i32 s24, s24, 1
	v_add_co_u32_e32 v9, vcc, s29, v9
	v_addc_co_u32_e32 v10, vcc, v5, v10, vcc
	global_load_dwordx2 v[9:10], v[9:10], off
	v_cmp_eq_u32_e32 vcc, s24, v3
	v_add_u32_e32 v1, s28, v1
	s_or_b64 s[20:21], vcc, s[20:21]
	s_waitcnt vmcnt(0)
	ds_write_b64 v8, v[9:10]
	v_add_u32_e32 v8, s22, v8
	s_andn2_b64 exec, exec, s[20:21]
	s_cbranch_execnz .LBB43_3
; %bb.4:                                ;   in Loop: Header=BB43_2 Depth=1
	s_or_b64 exec, exec, s[20:21]
	v_add_u32_e32 v7, s11, v7
	v_cmp_le_i32_e32 vcc, s10, v7
	v_add_u32_e32 v3, s11, v3
	s_or_b64 s[18:19], vcc, s[18:19]
	v_add_u32_e32 v4, s23, v4
	s_andn2_b64 exec, exec, s[18:19]
	s_cbranch_execnz .LBB43_2
.LBB43_5:
	s_or_b64 exec, exec, s[16:17]
	s_cmp_lt_i32 s10, 2
	s_waitcnt lgkmcnt(0)
	s_barrier
	s_cbranch_scc1 .LBB43_31
; %bb.6:
	s_load_dwordx2 s[4:5], s[4:5], 0x18
	s_mul_i32 s7, s14, s7
	s_mul_hi_u32 s16, s14, s6
	s_add_i32 s7, s16, s7
	v_lshlrev_b32_e32 v3, 3, v0
	s_waitcnt lgkmcnt(0)
	s_ashr_i32 s17, s4, 31
	s_mov_b32 s16, s4
	s_mul_i32 s4, s15, s6
	s_add_i32 s7, s7, s4
	s_mul_i32 s6, s14, s6
	s_lshl_b64 s[6:7], s[6:7], 3
	s_add_u32 s4, s12, s6
	s_addc_u32 s31, s13, s7
	s_lshl_b32 s33, s10, 3
	s_add_i32 s34, s33, 0
	s_add_i32 s6, s10, -2
	s_sub_i32 s35, s9, s10
	s_mov_b32 s7, 0
	s_cmpk_lg_i32 s8, 0xb5
	s_cselect_b64 s[12:13], -1, 0
	s_add_i32 s36, s9, -2
	s_lshl_b64 s[14:15], s[16:17], 3
	s_lshl_b64 s[16:17], s[6:7], 3
	s_add_u32 s8, s2, s16
	s_addc_u32 s9, s3, s17
	s_add_u32 s8, s8, s14
	s_addc_u32 s9, s9, s15
	v_mov_b32_e32 v1, s9
	v_add_co_u32_e32 v2, vcc, s8, v3
	s_ashr_i32 s9, s5, 31
	s_mov_b32 s8, s5
	s_lshl_b32 s37, s11, 3
	s_lshl_b64 s[8:9], s[8:9], 3
	s_add_u32 s16, s14, s16
	s_addc_u32 s17, s15, s17
	s_add_u32 s38, s2, s16
	s_addc_u32 s39, s3, s17
	;; [unrolled: 2-line block ×3, first 2 shown]
	s_add_i32 s2, s10, -1
	s_mul_i32 s14, s5, s2
	v_mul_lo_u32 v7, v0, s5
	s_add_i32 s2, s33, 8
	v_addc_co_u32_e32 v4, vcc, 0, v1, vcc
	s_mul_i32 s2, s10, s2
	v_add_co_u32_e32 v1, vcc, 8, v2
	s_add_i32 s2, s2, 0
	v_addc_co_u32_e32 v2, vcc, 0, v4, vcc
	s_mul_i32 s42, s5, s11
	s_mul_i32 s16, s5, s6
	v_add3_u32 v8, s2, v3, -8
	s_xor_b32 s43, s33, -8
	s_branch .LBB43_8
.LBB43_7:                               ;   in Loop: Header=BB43_8 Depth=1
	s_or_b64 exec, exec, s[2:3]
	s_add_i32 s2, s6, -1
	s_add_i32 s36, s36, -1
	s_add_u32 s38, s38, -8
	v_add_co_u32_e32 v1, vcc, -8, v1
	s_addc_u32 s39, s39, -1
	s_sub_i32 s14, s14, s5
	s_sub_i32 s16, s16, s5
	v_addc_co_u32_e32 v2, vcc, -1, v2, vcc
	v_add_u32_e32 v8, s43, v8
	s_cmp_lt_i32 s6, 1
	s_mov_b32 s6, s2
	s_waitcnt lgkmcnt(0)
	s_barrier
	s_cbranch_scc1 .LBB43_31
.LBB43_8:                               ; =>This Loop Header: Depth=1
                                        ;     Child Loop BB43_13 Depth 2
                                        ;       Child Loop BB43_15 Depth 3
                                        ;     Child Loop BB43_22 Depth 2
                                        ;       Child Loop BB43_24 Depth 3
	;; [unrolled: 2-line block ×3, first 2 shown]
	s_not_b32 s2, s6
	s_add_i32 s44, s10, s2
	s_lshl_b32 s2, s6, 3
	s_add_i32 s45, s34, s2
	s_mul_i32 s2, s6, s10
	s_lshl_b32 s2, s2, 3
	s_add_i32 s26, s6, s35
	s_add_i32 s45, s45, s2
	s_mov_b64 s[18:19], -1
	s_and_b64 vcc, exec, s[12:13]
	v_cmp_gt_i32_e64 s[2:3], s44, v0
	s_cbranch_vccz .LBB43_17
; %bb.9:                                ;   in Loop: Header=BB43_8 Depth=1
	s_and_saveexec_b64 s[18:19], s[2:3]
	s_cbranch_execz .LBB43_16
; %bb.10:                               ;   in Loop: Header=BB43_8 Depth=1
	s_cmp_gt_i32 s26, 0
	s_cselect_b64 s[2:3], -1, 0
	s_lshl_b64 s[20:21], s[6:7], 3
	s_add_u32 s22, s4, s20
	s_addc_u32 s23, s31, s21
	s_load_dwordx2 s[20:21], s[22:23], 0x0
	v_cndmask_b32_e64 v3, 0, 1, s[2:3]
	v_cmp_ne_u32_e64 s[2:3], 1, v3
	v_mov_b32_e32 v4, v2
	s_mov_b64 s[22:23], 0
	v_mov_b32_e32 v3, v1
	v_mov_b32_e32 v5, v0
	s_branch .LBB43_13
.LBB43_11:                              ;   in Loop: Header=BB43_13 Depth=2
	v_mov_b32_e32 v10, 0
.LBB43_12:                              ;   in Loop: Header=BB43_13 Depth=2
	v_lshlrev_b32_e32 v13, 3, v5
	v_add_u32_e32 v11, s45, v13
	ds_read_b64 v[11:12], v11 offset:8
	v_add_u32_e32 v5, s11, v5
	s_waitcnt lgkmcnt(0)
	v_mul_f32_e32 v14, s21, v9
	v_mul_f32_e32 v15, s21, v10
	v_cmp_le_i32_e32 vcc, s44, v5
	v_fma_f32 v10, v10, s20, -v14
	v_fmac_f32_e32 v15, s20, v9
	s_or_b64 s[22:23], vcc, s[22:23]
	v_add_co_u32_e32 v3, vcc, s37, v3
	v_add_f32_e32 v9, v11, v10
	v_add_f32_e32 v10, v12, v15
	v_add_u32_e32 v11, 0, v13
	v_addc_co_u32_e32 v4, vcc, 0, v4, vcc
	ds_write_b64 v11, v[9:10]
	s_andn2_b64 exec, exec, s[22:23]
	s_cbranch_execz .LBB43_16
.LBB43_13:                              ;   Parent Loop BB43_8 Depth=1
                                        ; =>  This Loop Header: Depth=2
                                        ;       Child Loop BB43_15 Depth 3
	v_mov_b32_e32 v9, 0
	s_and_b64 vcc, exec, s[2:3]
	s_cbranch_vccnz .LBB43_11
; %bb.14:                               ;   in Loop: Header=BB43_13 Depth=2
	s_mov_b32 s15, 0
	s_mov_b64 s[24:25], 0
	v_mov_b32_e32 v10, 0
.LBB43_15:                              ;   Parent Loop BB43_8 Depth=1
                                        ;     Parent Loop BB43_13 Depth=2
                                        ; =>    This Inner Loop Header: Depth=3
	v_mov_b32_e32 v12, s25
	s_add_u32 s46, s38, s24
	v_add_co_u32_e32 v11, vcc, s24, v3
	v_addc_co_u32_e32 v12, vcc, v4, v12, vcc
	s_addc_u32 s47, s39, s25
	v_mov_b32_e32 v13, s46
	v_mov_b32_e32 v14, s47
	flat_load_dwordx2 v[15:16], v[11:12]
	flat_load_dwordx2 v[17:18], v[13:14]
	s_add_i32 s15, s15, 1
	s_add_u32 s24, s24, s8
	s_addc_u32 s25, s25, s9
	s_cmp_eq_u32 s36, s15
	s_waitcnt vmcnt(0) lgkmcnt(0)
	v_mul_f32_e32 v11, v18, v16
	v_mul_f32_e32 v12, v18, v15
	v_fmac_f32_e32 v11, v17, v15
	v_fma_f32 v12, v17, v16, -v12
	v_add_f32_e32 v10, v10, v11
	v_add_f32_e32 v9, v9, v12
	s_cbranch_scc0 .LBB43_15
	s_branch .LBB43_12
.LBB43_16:                              ;   in Loop: Header=BB43_8 Depth=1
	s_or_b64 exec, exec, s[18:19]
	s_mov_b64 s[18:19], 0
.LBB43_17:                              ;   in Loop: Header=BB43_8 Depth=1
	s_andn2_b64 vcc, exec, s[18:19]
	s_cbranch_vccnz .LBB43_26
; %bb.18:                               ;   in Loop: Header=BB43_8 Depth=1
	v_cmp_gt_i32_e32 vcc, s44, v0
	s_and_saveexec_b64 s[2:3], vcc
	s_cbranch_execz .LBB43_25
; %bb.19:                               ;   in Loop: Header=BB43_8 Depth=1
	s_ashr_i32 s15, s14, 31
	s_ashr_i32 s17, s16, 31
	s_lshl_b64 s[24:25], s[14:15], 3
	s_lshl_b64 s[18:19], s[16:17], 3
	s_add_u32 s18, s40, s18
	s_addc_u32 s19, s41, s19
	s_cmp_gt_i32 s26, 0
	s_cselect_b64 s[20:21], -1, 0
	s_lshl_b64 s[22:23], s[6:7], 3
	s_add_u32 s26, s4, s22
	s_addc_u32 s27, s31, s23
	s_load_dwordx2 s[22:23], s[26:27], 0x0
	s_add_u32 s15, s40, s24
	s_addc_u32 s17, s41, s25
	s_mov_b64 s[24:25], 0
	v_mov_b32_e32 v3, v7
	v_mov_b32_e32 v9, v0
	s_branch .LBB43_22
.LBB43_20:                              ;   in Loop: Header=BB43_22 Depth=2
	v_mov_b32_e32 v10, 0
	v_mov_b32_e32 v11, 0
.LBB43_21:                              ;   in Loop: Header=BB43_22 Depth=2
	v_lshlrev_b32_e32 v12, 3, v9
	v_add_u32_e32 v4, s45, v12
	ds_read_b64 v[4:5], v4 offset:8
	s_waitcnt lgkmcnt(0)
	v_mul_f32_e32 v13, s23, v10
	v_mul_f32_e32 v14, s23, v11
	v_add_u32_e32 v9, s11, v9
	v_fma_f32 v11, v11, s22, -v13
	v_fmac_f32_e32 v14, s22, v10
	v_cmp_le_i32_e32 vcc, s44, v9
	v_add_f32_e32 v4, v4, v11
	v_add_f32_e32 v5, v5, v14
	v_add_u32_e32 v10, 0, v12
	s_or_b64 s[24:25], vcc, s[24:25]
	v_add_u32_e32 v3, s42, v3
	ds_write_b64 v10, v[4:5]
	s_andn2_b64 exec, exec, s[24:25]
	s_cbranch_execz .LBB43_25
.LBB43_22:                              ;   Parent Loop BB43_8 Depth=1
                                        ; =>  This Loop Header: Depth=2
                                        ;       Child Loop BB43_24 Depth 3
	s_andn2_b64 vcc, exec, s[20:21]
	s_cbranch_vccnz .LBB43_20
; %bb.23:                               ;   in Loop: Header=BB43_22 Depth=2
	v_ashrrev_i32_e32 v4, 31, v3
	v_lshlrev_b64 v[4:5], 3, v[3:4]
	v_mov_b32_e32 v10, s17
	v_add_co_u32_e32 v4, vcc, s15, v4
	v_addc_co_u32_e32 v5, vcc, v10, v5, vcc
	v_mov_b32_e32 v10, 0
	s_mov_b32 s46, 0
	s_mov_b64 s[26:27], s[18:19]
	v_mov_b32_e32 v11, 0
.LBB43_24:                              ;   Parent Loop BB43_8 Depth=1
                                        ;     Parent Loop BB43_22 Depth=2
                                        ; =>    This Inner Loop Header: Depth=3
	v_mov_b32_e32 v14, s26
	v_mov_b32_e32 v15, s27
	flat_load_dwordx2 v[12:13], v[4:5]
	s_add_i32 s46, s46, 1
	flat_load_dwordx2 v[14:15], v[14:15]
	s_add_u32 s26, s26, 8
	v_add_co_u32_e32 v4, vcc, 8, v4
	s_addc_u32 s27, s27, 0
	v_addc_co_u32_e32 v5, vcc, 0, v5, vcc
	s_cmp_eq_u32 s36, s46
	s_waitcnt vmcnt(0) lgkmcnt(0)
	v_mul_f32_e32 v16, v13, v15
	v_mul_f32_e32 v13, v13, v14
	v_fmac_f32_e32 v16, v12, v14
	v_fma_f32 v12, v12, v15, -v13
	v_add_f32_e32 v11, v11, v16
	v_add_f32_e32 v10, v10, v12
	s_cbranch_scc0 .LBB43_24
	s_branch .LBB43_21
.LBB43_25:                              ;   in Loop: Header=BB43_8 Depth=1
	s_or_b64 exec, exec, s[2:3]
.LBB43_26:                              ;   in Loop: Header=BB43_8 Depth=1
	v_cmp_gt_i32_e32 vcc, s44, v0
	s_waitcnt lgkmcnt(0)
	s_barrier
	s_and_saveexec_b64 s[2:3], vcc
	s_cbranch_execz .LBB43_7
; %bb.27:                               ;   in Loop: Header=BB43_8 Depth=1
	s_mov_b64 s[18:19], 0
	v_mov_b32_e32 v5, v8
	v_mov_b32_e32 v9, v0
.LBB43_28:                              ;   Parent Loop BB43_8 Depth=1
                                        ; =>  This Loop Header: Depth=2
                                        ;       Child Loop BB43_29 Depth 3
	v_mov_b32_e32 v3, 0
	s_mov_b32 s15, -1
	s_mov_b32 s17, 0
	s_mov_b64 s[20:21], 0
	v_mov_b32_e32 v10, v5
	v_mov_b32_e32 v4, 0
.LBB43_29:                              ;   Parent Loop BB43_8 Depth=1
                                        ;     Parent Loop BB43_28 Depth=2
                                        ; =>    This Inner Loop Header: Depth=3
	v_mov_b32_e32 v13, s17
	ds_read_b64 v[11:12], v10
	ds_read_b64 v[13:14], v13
	s_add_i32 s15, s15, 1
	s_add_i32 s17, s17, 8
	v_cmp_eq_u32_e32 vcc, s15, v9
	v_add_u32_e32 v10, s33, v10
	s_waitcnt lgkmcnt(0)
	v_mul_f32_e32 v15, v14, v12
	v_mul_f32_e32 v12, v13, v12
	v_fma_f32 v13, v13, v11, -v15
	v_fmac_f32_e32 v12, v14, v11
	s_or_b64 s[20:21], vcc, s[20:21]
	v_add_f32_e32 v3, v3, v13
	v_add_f32_e32 v4, v4, v12
	s_andn2_b64 exec, exec, s[20:21]
	s_cbranch_execnz .LBB43_29
; %bb.30:                               ;   in Loop: Header=BB43_28 Depth=2
	s_or_b64 exec, exec, s[20:21]
	v_lshl_add_u32 v10, v9, 3, s45
	v_add_u32_e32 v9, s11, v9
	v_cmp_le_i32_e32 vcc, s44, v9
	s_or_b64 s[18:19], vcc, s[18:19]
	v_add_u32_e32 v5, s37, v5
	ds_write_b64 v10, v[3:4] offset:8
	s_andn2_b64 exec, exec, s[18:19]
	s_cbranch_execnz .LBB43_28
	s_branch .LBB43_7
.LBB43_31:
	s_and_saveexec_b64 s[2:3], s[0:1]
	s_cbranch_execz .LBB43_36
; %bb.32:
	s_lshl_b32 s4, s10, 3
	s_add_i32 s0, s4, 0
	v_lshl_add_u32 v3, v0, 3, s0
	s_lshl_b32 s5, s11, 3
	s_mov_b64 s[0:1], 0
	v_mov_b32_e32 v4, s30
.LBB43_33:                              ; =>This Loop Header: Depth=1
                                        ;     Child Loop BB43_34 Depth 2
	s_mov_b64 s[2:3], 0
	v_mov_b32_e32 v5, v3
	v_mov_b32_e32 v1, v0
	s_mov_b32 s6, 0
.LBB43_34:                              ;   Parent Loop BB43_33 Depth=1
                                        ; =>  This Inner Loop Header: Depth=2
	v_ashrrev_i32_e32 v2, 31, v1
	ds_read_b64 v[7:8], v5
	s_add_i32 s6, s6, 1
	v_lshlrev_b64 v[9:10], 3, v[1:2]
	v_cmp_eq_u32_e32 vcc, s6, v6
	s_or_b64 s[2:3], vcc, s[2:3]
	v_add_co_u32_e32 v9, vcc, s29, v9
	v_add_u32_e32 v5, s4, v5
	v_add_u32_e32 v1, s28, v1
	v_addc_co_u32_e32 v10, vcc, v4, v10, vcc
	s_waitcnt lgkmcnt(0)
	global_store_dwordx2 v[9:10], v[7:8], off
	s_andn2_b64 exec, exec, s[2:3]
	s_cbranch_execnz .LBB43_34
; %bb.35:                               ;   in Loop: Header=BB43_33 Depth=1
	s_or_b64 exec, exec, s[2:3]
	v_add_u32_e32 v0, s11, v0
	v_cmp_le_i32_e32 vcc, s10, v0
	v_add_u32_e32 v6, s11, v6
	s_or_b64 s[0:1], vcc, s[0:1]
	v_add_u32_e32 v3, s5, v3
	s_andn2_b64 exec, exec, s[0:1]
	s_cbranch_execnz .LBB43_33
.LBB43_36:
	s_endpgm
	.section	.rodata,"a",@progbits
	.p2align	6, 0x0
	.amdhsa_kernel _ZN9rocsolver6v33100L21larft_kernel_backwardI19rocblas_complex_numIfEPKPS3_EEv15rocblas_storev_iiT0_iilPT_lSA_il
		.amdhsa_group_segment_fixed_size 0
		.amdhsa_private_segment_fixed_size 0
		.amdhsa_kernarg_size 336
		.amdhsa_user_sgpr_count 6
		.amdhsa_user_sgpr_private_segment_buffer 1
		.amdhsa_user_sgpr_dispatch_ptr 0
		.amdhsa_user_sgpr_queue_ptr 0
		.amdhsa_user_sgpr_kernarg_segment_ptr 1
		.amdhsa_user_sgpr_dispatch_id 0
		.amdhsa_user_sgpr_flat_scratch_init 0
		.amdhsa_user_sgpr_private_segment_size 0
		.amdhsa_uses_dynamic_stack 0
		.amdhsa_system_sgpr_private_segment_wavefront_offset 0
		.amdhsa_system_sgpr_workgroup_id_x 1
		.amdhsa_system_sgpr_workgroup_id_y 1
		.amdhsa_system_sgpr_workgroup_id_z 0
		.amdhsa_system_sgpr_workgroup_info 0
		.amdhsa_system_vgpr_workitem_id 0
		.amdhsa_next_free_vgpr 19
		.amdhsa_next_free_sgpr 48
		.amdhsa_reserve_vcc 1
		.amdhsa_reserve_flat_scratch 0
		.amdhsa_float_round_mode_32 0
		.amdhsa_float_round_mode_16_64 0
		.amdhsa_float_denorm_mode_32 3
		.amdhsa_float_denorm_mode_16_64 3
		.amdhsa_dx10_clamp 1
		.amdhsa_ieee_mode 1
		.amdhsa_fp16_overflow 0
		.amdhsa_exception_fp_ieee_invalid_op 0
		.amdhsa_exception_fp_denorm_src 0
		.amdhsa_exception_fp_ieee_div_zero 0
		.amdhsa_exception_fp_ieee_overflow 0
		.amdhsa_exception_fp_ieee_underflow 0
		.amdhsa_exception_fp_ieee_inexact 0
		.amdhsa_exception_int_div_zero 0
	.end_amdhsa_kernel
	.section	.text._ZN9rocsolver6v33100L21larft_kernel_backwardI19rocblas_complex_numIfEPKPS3_EEv15rocblas_storev_iiT0_iilPT_lSA_il,"axG",@progbits,_ZN9rocsolver6v33100L21larft_kernel_backwardI19rocblas_complex_numIfEPKPS3_EEv15rocblas_storev_iiT0_iilPT_lSA_il,comdat
.Lfunc_end43:
	.size	_ZN9rocsolver6v33100L21larft_kernel_backwardI19rocblas_complex_numIfEPKPS3_EEv15rocblas_storev_iiT0_iilPT_lSA_il, .Lfunc_end43-_ZN9rocsolver6v33100L21larft_kernel_backwardI19rocblas_complex_numIfEPKPS3_EEv15rocblas_storev_iiT0_iilPT_lSA_il
                                        ; -- End function
	.set _ZN9rocsolver6v33100L21larft_kernel_backwardI19rocblas_complex_numIfEPKPS3_EEv15rocblas_storev_iiT0_iilPT_lSA_il.num_vgpr, 19
	.set _ZN9rocsolver6v33100L21larft_kernel_backwardI19rocblas_complex_numIfEPKPS3_EEv15rocblas_storev_iiT0_iilPT_lSA_il.num_agpr, 0
	.set _ZN9rocsolver6v33100L21larft_kernel_backwardI19rocblas_complex_numIfEPKPS3_EEv15rocblas_storev_iiT0_iilPT_lSA_il.numbered_sgpr, 48
	.set _ZN9rocsolver6v33100L21larft_kernel_backwardI19rocblas_complex_numIfEPKPS3_EEv15rocblas_storev_iiT0_iilPT_lSA_il.num_named_barrier, 0
	.set _ZN9rocsolver6v33100L21larft_kernel_backwardI19rocblas_complex_numIfEPKPS3_EEv15rocblas_storev_iiT0_iilPT_lSA_il.private_seg_size, 0
	.set _ZN9rocsolver6v33100L21larft_kernel_backwardI19rocblas_complex_numIfEPKPS3_EEv15rocblas_storev_iiT0_iilPT_lSA_il.uses_vcc, 1
	.set _ZN9rocsolver6v33100L21larft_kernel_backwardI19rocblas_complex_numIfEPKPS3_EEv15rocblas_storev_iiT0_iilPT_lSA_il.uses_flat_scratch, 0
	.set _ZN9rocsolver6v33100L21larft_kernel_backwardI19rocblas_complex_numIfEPKPS3_EEv15rocblas_storev_iiT0_iilPT_lSA_il.has_dyn_sized_stack, 0
	.set _ZN9rocsolver6v33100L21larft_kernel_backwardI19rocblas_complex_numIfEPKPS3_EEv15rocblas_storev_iiT0_iilPT_lSA_il.has_recursion, 0
	.set _ZN9rocsolver6v33100L21larft_kernel_backwardI19rocblas_complex_numIfEPKPS3_EEv15rocblas_storev_iiT0_iilPT_lSA_il.has_indirect_call, 0
	.section	.AMDGPU.csdata,"",@progbits
; Kernel info:
; codeLenInByte = 1628
; TotalNumSgprs: 52
; NumVgprs: 19
; ScratchSize: 0
; MemoryBound: 0
; FloatMode: 240
; IeeeMode: 1
; LDSByteSize: 0 bytes/workgroup (compile time only)
; SGPRBlocks: 6
; VGPRBlocks: 4
; NumSGPRsForWavesPerEU: 52
; NumVGPRsForWavesPerEU: 19
; Occupancy: 10
; WaveLimiterHint : 0
; COMPUTE_PGM_RSRC2:SCRATCH_EN: 0
; COMPUTE_PGM_RSRC2:USER_SGPR: 6
; COMPUTE_PGM_RSRC2:TRAP_HANDLER: 0
; COMPUTE_PGM_RSRC2:TGID_X_EN: 1
; COMPUTE_PGM_RSRC2:TGID_Y_EN: 1
; COMPUTE_PGM_RSRC2:TGID_Z_EN: 0
; COMPUTE_PGM_RSRC2:TIDIG_COMP_CNT: 0
	.section	.text._ZN9rocsolver6v33100L9copymatA1I19rocblas_complex_numIfEPKPS3_EEviiT0_iilPT_,"axG",@progbits,_ZN9rocsolver6v33100L9copymatA1I19rocblas_complex_numIfEPKPS3_EEviiT0_iilPT_,comdat
	.globl	_ZN9rocsolver6v33100L9copymatA1I19rocblas_complex_numIfEPKPS3_EEviiT0_iilPT_ ; -- Begin function _ZN9rocsolver6v33100L9copymatA1I19rocblas_complex_numIfEPKPS3_EEviiT0_iilPT_
	.p2align	8
	.type	_ZN9rocsolver6v33100L9copymatA1I19rocblas_complex_numIfEPKPS3_EEviiT0_iilPT_,@function
_ZN9rocsolver6v33100L9copymatA1I19rocblas_complex_numIfEPKPS3_EEviiT0_iilPT_: ; @_ZN9rocsolver6v33100L9copymatA1I19rocblas_complex_numIfEPKPS3_EEviiT0_iilPT_
; %bb.0:
	s_load_dword s0, s[4:5], 0x34
	s_load_dwordx2 s[2:3], s[4:5], 0x0
	s_waitcnt lgkmcnt(0)
	s_lshr_b32 s1, s0, 16
	s_and_b32 s0, s0, 0xffff
	s_mul_i32 s6, s6, s0
	s_mul_i32 s7, s7, s1
	v_add_u32_e32 v2, s6, v0
	v_add_u32_e32 v0, s7, v1
	v_cmp_gt_u32_e32 vcc, s2, v0
	v_cmp_gt_u32_e64 s[0:1], s3, v2
	s_and_b64 s[0:1], s[0:1], vcc
	s_and_saveexec_b64 s[6:7], s[0:1]
	s_cbranch_execz .LBB44_2
; %bb.1:
	s_load_dwordx4 s[12:15], s[4:5], 0x8
	s_load_dwordx2 s[0:1], s[4:5], 0x20
	s_ashr_i32 s4, s2, 31
	s_mul_hi_u32 s6, s2, s8
	s_mul_i32 s4, s4, s8
	s_ashr_i32 s5, s3, 31
	s_add_i32 s4, s6, s4
	s_mul_i32 s6, s2, s8
	s_mul_i32 s5, s6, s5
	s_mul_hi_u32 s7, s6, s3
	s_add_i32 s5, s7, s5
	s_mul_i32 s4, s4, s3
	s_add_i32 s5, s5, s4
	s_mul_i32 s4, s6, s3
	s_lshl_b64 s[4:5], s[4:5], 3
	s_mov_b32 s9, 0
	s_waitcnt lgkmcnt(0)
	s_add_u32 s3, s0, s4
	s_addc_u32 s10, s1, s5
	s_ashr_i32 s1, s14, 31
	s_lshl_b64 s[4:5], s[8:9], 3
	s_add_u32 s4, s12, s4
	s_addc_u32 s5, s13, s5
	s_load_dwordx2 s[4:5], s[4:5], 0x0
	v_mad_u64_u32 v[3:4], s[6:7], v2, s15, v[0:1]
	s_mov_b32 s0, s14
	s_lshl_b64 s[0:1], s[0:1], 3
	v_mov_b32_e32 v4, 0
	s_waitcnt lgkmcnt(0)
	s_add_u32 s0, s4, s0
	v_lshlrev_b64 v[5:6], 3, v[3:4]
	s_addc_u32 s1, s5, s1
	v_mov_b32_e32 v1, s1
	v_add_co_u32_e32 v5, vcc, s0, v5
	v_addc_co_u32_e32 v6, vcc, v1, v6, vcc
	flat_load_dwordx2 v[5:6], v[5:6]
	v_mad_u64_u32 v[0:1], s[0:1], v2, s2, v[0:1]
	v_mov_b32_e32 v1, v4
	v_mov_b32_e32 v2, s10
	v_lshlrev_b64 v[0:1], 3, v[0:1]
	v_add_co_u32_e32 v0, vcc, s3, v0
	v_addc_co_u32_e32 v1, vcc, v2, v1, vcc
	s_waitcnt vmcnt(0) lgkmcnt(0)
	global_store_dwordx2 v[0:1], v[5:6], off
.LBB44_2:
	s_endpgm
	.section	.rodata,"a",@progbits
	.p2align	6, 0x0
	.amdhsa_kernel _ZN9rocsolver6v33100L9copymatA1I19rocblas_complex_numIfEPKPS3_EEviiT0_iilPT_
		.amdhsa_group_segment_fixed_size 0
		.amdhsa_private_segment_fixed_size 0
		.amdhsa_kernarg_size 296
		.amdhsa_user_sgpr_count 6
		.amdhsa_user_sgpr_private_segment_buffer 1
		.amdhsa_user_sgpr_dispatch_ptr 0
		.amdhsa_user_sgpr_queue_ptr 0
		.amdhsa_user_sgpr_kernarg_segment_ptr 1
		.amdhsa_user_sgpr_dispatch_id 0
		.amdhsa_user_sgpr_flat_scratch_init 0
		.amdhsa_user_sgpr_private_segment_size 0
		.amdhsa_uses_dynamic_stack 0
		.amdhsa_system_sgpr_private_segment_wavefront_offset 0
		.amdhsa_system_sgpr_workgroup_id_x 1
		.amdhsa_system_sgpr_workgroup_id_y 1
		.amdhsa_system_sgpr_workgroup_id_z 1
		.amdhsa_system_sgpr_workgroup_info 0
		.amdhsa_system_vgpr_workitem_id 1
		.amdhsa_next_free_vgpr 7
		.amdhsa_next_free_sgpr 16
		.amdhsa_reserve_vcc 1
		.amdhsa_reserve_flat_scratch 0
		.amdhsa_float_round_mode_32 0
		.amdhsa_float_round_mode_16_64 0
		.amdhsa_float_denorm_mode_32 3
		.amdhsa_float_denorm_mode_16_64 3
		.amdhsa_dx10_clamp 1
		.amdhsa_ieee_mode 1
		.amdhsa_fp16_overflow 0
		.amdhsa_exception_fp_ieee_invalid_op 0
		.amdhsa_exception_fp_denorm_src 0
		.amdhsa_exception_fp_ieee_div_zero 0
		.amdhsa_exception_fp_ieee_overflow 0
		.amdhsa_exception_fp_ieee_underflow 0
		.amdhsa_exception_fp_ieee_inexact 0
		.amdhsa_exception_int_div_zero 0
	.end_amdhsa_kernel
	.section	.text._ZN9rocsolver6v33100L9copymatA1I19rocblas_complex_numIfEPKPS3_EEviiT0_iilPT_,"axG",@progbits,_ZN9rocsolver6v33100L9copymatA1I19rocblas_complex_numIfEPKPS3_EEviiT0_iilPT_,comdat
.Lfunc_end44:
	.size	_ZN9rocsolver6v33100L9copymatA1I19rocblas_complex_numIfEPKPS3_EEviiT0_iilPT_, .Lfunc_end44-_ZN9rocsolver6v33100L9copymatA1I19rocblas_complex_numIfEPKPS3_EEviiT0_iilPT_
                                        ; -- End function
	.set _ZN9rocsolver6v33100L9copymatA1I19rocblas_complex_numIfEPKPS3_EEviiT0_iilPT_.num_vgpr, 7
	.set _ZN9rocsolver6v33100L9copymatA1I19rocblas_complex_numIfEPKPS3_EEviiT0_iilPT_.num_agpr, 0
	.set _ZN9rocsolver6v33100L9copymatA1I19rocblas_complex_numIfEPKPS3_EEviiT0_iilPT_.numbered_sgpr, 16
	.set _ZN9rocsolver6v33100L9copymatA1I19rocblas_complex_numIfEPKPS3_EEviiT0_iilPT_.num_named_barrier, 0
	.set _ZN9rocsolver6v33100L9copymatA1I19rocblas_complex_numIfEPKPS3_EEviiT0_iilPT_.private_seg_size, 0
	.set _ZN9rocsolver6v33100L9copymatA1I19rocblas_complex_numIfEPKPS3_EEviiT0_iilPT_.uses_vcc, 1
	.set _ZN9rocsolver6v33100L9copymatA1I19rocblas_complex_numIfEPKPS3_EEviiT0_iilPT_.uses_flat_scratch, 0
	.set _ZN9rocsolver6v33100L9copymatA1I19rocblas_complex_numIfEPKPS3_EEviiT0_iilPT_.has_dyn_sized_stack, 0
	.set _ZN9rocsolver6v33100L9copymatA1I19rocblas_complex_numIfEPKPS3_EEviiT0_iilPT_.has_recursion, 0
	.set _ZN9rocsolver6v33100L9copymatA1I19rocblas_complex_numIfEPKPS3_EEviiT0_iilPT_.has_indirect_call, 0
	.section	.AMDGPU.csdata,"",@progbits
; Kernel info:
; codeLenInByte = 288
; TotalNumSgprs: 20
; NumVgprs: 7
; ScratchSize: 0
; MemoryBound: 0
; FloatMode: 240
; IeeeMode: 1
; LDSByteSize: 0 bytes/workgroup (compile time only)
; SGPRBlocks: 2
; VGPRBlocks: 1
; NumSGPRsForWavesPerEU: 20
; NumVGPRsForWavesPerEU: 7
; Occupancy: 10
; WaveLimiterHint : 1
; COMPUTE_PGM_RSRC2:SCRATCH_EN: 0
; COMPUTE_PGM_RSRC2:USER_SGPR: 6
; COMPUTE_PGM_RSRC2:TRAP_HANDLER: 0
; COMPUTE_PGM_RSRC2:TGID_X_EN: 1
; COMPUTE_PGM_RSRC2:TGID_Y_EN: 1
; COMPUTE_PGM_RSRC2:TGID_Z_EN: 1
; COMPUTE_PGM_RSRC2:TIDIG_COMP_CNT: 1
	.section	.text._ZN9rocsolver6v33100L8addmatA1I19rocblas_complex_numIfEPKPS3_EEviiT0_iilPT_,"axG",@progbits,_ZN9rocsolver6v33100L8addmatA1I19rocblas_complex_numIfEPKPS3_EEviiT0_iilPT_,comdat
	.globl	_ZN9rocsolver6v33100L8addmatA1I19rocblas_complex_numIfEPKPS3_EEviiT0_iilPT_ ; -- Begin function _ZN9rocsolver6v33100L8addmatA1I19rocblas_complex_numIfEPKPS3_EEviiT0_iilPT_
	.p2align	8
	.type	_ZN9rocsolver6v33100L8addmatA1I19rocblas_complex_numIfEPKPS3_EEviiT0_iilPT_,@function
_ZN9rocsolver6v33100L8addmatA1I19rocblas_complex_numIfEPKPS3_EEviiT0_iilPT_: ; @_ZN9rocsolver6v33100L8addmatA1I19rocblas_complex_numIfEPKPS3_EEviiT0_iilPT_
; %bb.0:
	s_load_dword s0, s[4:5], 0x34
	s_load_dwordx2 s[10:11], s[4:5], 0x0
	s_waitcnt lgkmcnt(0)
	s_lshr_b32 s1, s0, 16
	s_and_b32 s0, s0, 0xffff
	s_mul_i32 s6, s6, s0
	s_mul_i32 s7, s7, s1
	v_add_u32_e32 v2, s6, v0
	v_add_u32_e32 v0, s7, v1
	v_cmp_gt_u32_e32 vcc, s10, v0
	v_cmp_gt_u32_e64 s[0:1], s11, v2
	s_and_b64 s[0:1], s[0:1], vcc
	s_and_saveexec_b64 s[2:3], s[0:1]
	s_cbranch_execz .LBB45_2
; %bb.1:
	s_load_dwordx4 s[0:3], s[4:5], 0x8
	s_load_dwordx2 s[6:7], s[4:5], 0x20
	s_ashr_i32 s4, s10, 31
	s_mul_hi_u32 s12, s10, s8
	s_mul_i32 s4, s4, s8
	s_ashr_i32 s5, s11, 31
	s_add_i32 s4, s12, s4
	s_mul_i32 s12, s10, s8
	s_mul_i32 s5, s12, s5
	s_mul_hi_u32 s13, s12, s11
	s_add_i32 s5, s13, s5
	s_mul_i32 s4, s4, s11
	s_add_i32 s5, s5, s4
	s_mul_i32 s4, s12, s11
	s_lshl_b64 s[4:5], s[4:5], 3
	s_mov_b32 s9, 0
	s_waitcnt lgkmcnt(0)
	s_add_u32 s11, s6, s4
	s_addc_u32 s12, s7, s5
	s_ashr_i32 s5, s2, 31
	s_lshl_b64 s[6:7], s[8:9], 3
	s_add_u32 s0, s0, s6
	s_addc_u32 s1, s1, s7
	s_load_dwordx2 s[0:1], s[0:1], 0x0
	s_mov_b32 s4, s2
	s_lshl_b64 s[4:5], s[4:5], 3
	v_mad_u64_u32 v[3:4], s[6:7], v2, s10, v[0:1]
	s_waitcnt lgkmcnt(0)
	s_add_u32 s2, s0, s4
	s_addc_u32 s4, s1, s5
	v_mad_u64_u32 v[0:1], s[0:1], v2, s3, v[0:1]
	v_mov_b32_e32 v4, 0
	v_lshlrev_b64 v[5:6], 3, v[3:4]
	v_mov_b32_e32 v1, v4
	v_mov_b32_e32 v3, s12
	v_add_co_u32_e32 v2, vcc, s11, v5
	v_lshlrev_b64 v[0:1], 3, v[0:1]
	v_addc_co_u32_e32 v3, vcc, v3, v6, vcc
	v_mov_b32_e32 v4, s4
	v_add_co_u32_e32 v0, vcc, s2, v0
	v_addc_co_u32_e32 v1, vcc, v4, v1, vcc
	global_load_dwordx2 v[4:5], v[2:3], off
	flat_load_dwordx2 v[6:7], v[0:1]
	s_waitcnt vmcnt(0) lgkmcnt(0)
	v_sub_f32_e32 v2, v6, v4
	v_sub_f32_e32 v3, v7, v5
	flat_store_dwordx2 v[0:1], v[2:3]
.LBB45_2:
	s_endpgm
	.section	.rodata,"a",@progbits
	.p2align	6, 0x0
	.amdhsa_kernel _ZN9rocsolver6v33100L8addmatA1I19rocblas_complex_numIfEPKPS3_EEviiT0_iilPT_
		.amdhsa_group_segment_fixed_size 0
		.amdhsa_private_segment_fixed_size 0
		.amdhsa_kernarg_size 296
		.amdhsa_user_sgpr_count 6
		.amdhsa_user_sgpr_private_segment_buffer 1
		.amdhsa_user_sgpr_dispatch_ptr 0
		.amdhsa_user_sgpr_queue_ptr 0
		.amdhsa_user_sgpr_kernarg_segment_ptr 1
		.amdhsa_user_sgpr_dispatch_id 0
		.amdhsa_user_sgpr_flat_scratch_init 0
		.amdhsa_user_sgpr_private_segment_size 0
		.amdhsa_uses_dynamic_stack 0
		.amdhsa_system_sgpr_private_segment_wavefront_offset 0
		.amdhsa_system_sgpr_workgroup_id_x 1
		.amdhsa_system_sgpr_workgroup_id_y 1
		.amdhsa_system_sgpr_workgroup_id_z 1
		.amdhsa_system_sgpr_workgroup_info 0
		.amdhsa_system_vgpr_workitem_id 1
		.amdhsa_next_free_vgpr 8
		.amdhsa_next_free_sgpr 14
		.amdhsa_reserve_vcc 1
		.amdhsa_reserve_flat_scratch 0
		.amdhsa_float_round_mode_32 0
		.amdhsa_float_round_mode_16_64 0
		.amdhsa_float_denorm_mode_32 3
		.amdhsa_float_denorm_mode_16_64 3
		.amdhsa_dx10_clamp 1
		.amdhsa_ieee_mode 1
		.amdhsa_fp16_overflow 0
		.amdhsa_exception_fp_ieee_invalid_op 0
		.amdhsa_exception_fp_denorm_src 0
		.amdhsa_exception_fp_ieee_div_zero 0
		.amdhsa_exception_fp_ieee_overflow 0
		.amdhsa_exception_fp_ieee_underflow 0
		.amdhsa_exception_fp_ieee_inexact 0
		.amdhsa_exception_int_div_zero 0
	.end_amdhsa_kernel
	.section	.text._ZN9rocsolver6v33100L8addmatA1I19rocblas_complex_numIfEPKPS3_EEviiT0_iilPT_,"axG",@progbits,_ZN9rocsolver6v33100L8addmatA1I19rocblas_complex_numIfEPKPS3_EEviiT0_iilPT_,comdat
.Lfunc_end45:
	.size	_ZN9rocsolver6v33100L8addmatA1I19rocblas_complex_numIfEPKPS3_EEviiT0_iilPT_, .Lfunc_end45-_ZN9rocsolver6v33100L8addmatA1I19rocblas_complex_numIfEPKPS3_EEviiT0_iilPT_
                                        ; -- End function
	.set _ZN9rocsolver6v33100L8addmatA1I19rocblas_complex_numIfEPKPS3_EEviiT0_iilPT_.num_vgpr, 8
	.set _ZN9rocsolver6v33100L8addmatA1I19rocblas_complex_numIfEPKPS3_EEviiT0_iilPT_.num_agpr, 0
	.set _ZN9rocsolver6v33100L8addmatA1I19rocblas_complex_numIfEPKPS3_EEviiT0_iilPT_.numbered_sgpr, 14
	.set _ZN9rocsolver6v33100L8addmatA1I19rocblas_complex_numIfEPKPS3_EEviiT0_iilPT_.num_named_barrier, 0
	.set _ZN9rocsolver6v33100L8addmatA1I19rocblas_complex_numIfEPKPS3_EEviiT0_iilPT_.private_seg_size, 0
	.set _ZN9rocsolver6v33100L8addmatA1I19rocblas_complex_numIfEPKPS3_EEviiT0_iilPT_.uses_vcc, 1
	.set _ZN9rocsolver6v33100L8addmatA1I19rocblas_complex_numIfEPKPS3_EEviiT0_iilPT_.uses_flat_scratch, 0
	.set _ZN9rocsolver6v33100L8addmatA1I19rocblas_complex_numIfEPKPS3_EEviiT0_iilPT_.has_dyn_sized_stack, 0
	.set _ZN9rocsolver6v33100L8addmatA1I19rocblas_complex_numIfEPKPS3_EEviiT0_iilPT_.has_recursion, 0
	.set _ZN9rocsolver6v33100L8addmatA1I19rocblas_complex_numIfEPKPS3_EEviiT0_iilPT_.has_indirect_call, 0
	.section	.AMDGPU.csdata,"",@progbits
; Kernel info:
; codeLenInByte = 304
; TotalNumSgprs: 18
; NumVgprs: 8
; ScratchSize: 0
; MemoryBound: 0
; FloatMode: 240
; IeeeMode: 1
; LDSByteSize: 0 bytes/workgroup (compile time only)
; SGPRBlocks: 2
; VGPRBlocks: 1
; NumSGPRsForWavesPerEU: 18
; NumVGPRsForWavesPerEU: 8
; Occupancy: 10
; WaveLimiterHint : 1
; COMPUTE_PGM_RSRC2:SCRATCH_EN: 0
; COMPUTE_PGM_RSRC2:USER_SGPR: 6
; COMPUTE_PGM_RSRC2:TRAP_HANDLER: 0
; COMPUTE_PGM_RSRC2:TGID_X_EN: 1
; COMPUTE_PGM_RSRC2:TGID_Y_EN: 1
; COMPUTE_PGM_RSRC2:TGID_Z_EN: 1
; COMPUTE_PGM_RSRC2:TIDIG_COMP_CNT: 1
	.section	.text._ZN9rocsolver6v33100L6iota_nI19rocblas_complex_numIdEEEvPT_jS4_,"axG",@progbits,_ZN9rocsolver6v33100L6iota_nI19rocblas_complex_numIdEEEvPT_jS4_,comdat
	.globl	_ZN9rocsolver6v33100L6iota_nI19rocblas_complex_numIdEEEvPT_jS4_ ; -- Begin function _ZN9rocsolver6v33100L6iota_nI19rocblas_complex_numIdEEEvPT_jS4_
	.p2align	8
	.type	_ZN9rocsolver6v33100L6iota_nI19rocblas_complex_numIdEEEvPT_jS4_,@function
_ZN9rocsolver6v33100L6iota_nI19rocblas_complex_numIdEEEvPT_jS4_: ; @_ZN9rocsolver6v33100L6iota_nI19rocblas_complex_numIdEEEvPT_jS4_
; %bb.0:
	s_load_dword s0, s[4:5], 0x8
	s_waitcnt lgkmcnt(0)
	v_cmp_gt_u32_e32 vcc, s0, v0
	s_and_saveexec_b64 s[0:1], vcc
	s_cbranch_execz .LBB46_2
; %bb.1:
	s_load_dwordx4 s[0:3], s[4:5], 0x10
	v_cvt_f64_u32_e32 v[1:2], v0
	v_lshlrev_b32_e32 v0, 4, v0
	s_waitcnt lgkmcnt(0)
	v_add_f64 v[1:2], s[0:1], v[1:2]
	v_add_f64 v[3:4], s[2:3], 0
	s_load_dwordx2 s[0:1], s[4:5], 0x0
	s_waitcnt lgkmcnt(0)
	global_store_dwordx4 v0, v[1:4], s[0:1]
.LBB46_2:
	s_endpgm
	.section	.rodata,"a",@progbits
	.p2align	6, 0x0
	.amdhsa_kernel _ZN9rocsolver6v33100L6iota_nI19rocblas_complex_numIdEEEvPT_jS4_
		.amdhsa_group_segment_fixed_size 0
		.amdhsa_private_segment_fixed_size 0
		.amdhsa_kernarg_size 32
		.amdhsa_user_sgpr_count 6
		.amdhsa_user_sgpr_private_segment_buffer 1
		.amdhsa_user_sgpr_dispatch_ptr 0
		.amdhsa_user_sgpr_queue_ptr 0
		.amdhsa_user_sgpr_kernarg_segment_ptr 1
		.amdhsa_user_sgpr_dispatch_id 0
		.amdhsa_user_sgpr_flat_scratch_init 0
		.amdhsa_user_sgpr_private_segment_size 0
		.amdhsa_uses_dynamic_stack 0
		.amdhsa_system_sgpr_private_segment_wavefront_offset 0
		.amdhsa_system_sgpr_workgroup_id_x 1
		.amdhsa_system_sgpr_workgroup_id_y 0
		.amdhsa_system_sgpr_workgroup_id_z 0
		.amdhsa_system_sgpr_workgroup_info 0
		.amdhsa_system_vgpr_workitem_id 0
		.amdhsa_next_free_vgpr 5
		.amdhsa_next_free_sgpr 6
		.amdhsa_reserve_vcc 1
		.amdhsa_reserve_flat_scratch 0
		.amdhsa_float_round_mode_32 0
		.amdhsa_float_round_mode_16_64 0
		.amdhsa_float_denorm_mode_32 3
		.amdhsa_float_denorm_mode_16_64 3
		.amdhsa_dx10_clamp 1
		.amdhsa_ieee_mode 1
		.amdhsa_fp16_overflow 0
		.amdhsa_exception_fp_ieee_invalid_op 0
		.amdhsa_exception_fp_denorm_src 0
		.amdhsa_exception_fp_ieee_div_zero 0
		.amdhsa_exception_fp_ieee_overflow 0
		.amdhsa_exception_fp_ieee_underflow 0
		.amdhsa_exception_fp_ieee_inexact 0
		.amdhsa_exception_int_div_zero 0
	.end_amdhsa_kernel
	.section	.text._ZN9rocsolver6v33100L6iota_nI19rocblas_complex_numIdEEEvPT_jS4_,"axG",@progbits,_ZN9rocsolver6v33100L6iota_nI19rocblas_complex_numIdEEEvPT_jS4_,comdat
.Lfunc_end46:
	.size	_ZN9rocsolver6v33100L6iota_nI19rocblas_complex_numIdEEEvPT_jS4_, .Lfunc_end46-_ZN9rocsolver6v33100L6iota_nI19rocblas_complex_numIdEEEvPT_jS4_
                                        ; -- End function
	.set _ZN9rocsolver6v33100L6iota_nI19rocblas_complex_numIdEEEvPT_jS4_.num_vgpr, 5
	.set _ZN9rocsolver6v33100L6iota_nI19rocblas_complex_numIdEEEvPT_jS4_.num_agpr, 0
	.set _ZN9rocsolver6v33100L6iota_nI19rocblas_complex_numIdEEEvPT_jS4_.numbered_sgpr, 6
	.set _ZN9rocsolver6v33100L6iota_nI19rocblas_complex_numIdEEEvPT_jS4_.num_named_barrier, 0
	.set _ZN9rocsolver6v33100L6iota_nI19rocblas_complex_numIdEEEvPT_jS4_.private_seg_size, 0
	.set _ZN9rocsolver6v33100L6iota_nI19rocblas_complex_numIdEEEvPT_jS4_.uses_vcc, 1
	.set _ZN9rocsolver6v33100L6iota_nI19rocblas_complex_numIdEEEvPT_jS4_.uses_flat_scratch, 0
	.set _ZN9rocsolver6v33100L6iota_nI19rocblas_complex_numIdEEEvPT_jS4_.has_dyn_sized_stack, 0
	.set _ZN9rocsolver6v33100L6iota_nI19rocblas_complex_numIdEEEvPT_jS4_.has_recursion, 0
	.set _ZN9rocsolver6v33100L6iota_nI19rocblas_complex_numIdEEEvPT_jS4_.has_indirect_call, 0
	.section	.AMDGPU.csdata,"",@progbits
; Kernel info:
; codeLenInByte = 84
; TotalNumSgprs: 10
; NumVgprs: 5
; ScratchSize: 0
; MemoryBound: 0
; FloatMode: 240
; IeeeMode: 1
; LDSByteSize: 0 bytes/workgroup (compile time only)
; SGPRBlocks: 1
; VGPRBlocks: 1
; NumSGPRsForWavesPerEU: 10
; NumVGPRsForWavesPerEU: 5
; Occupancy: 10
; WaveLimiterHint : 0
; COMPUTE_PGM_RSRC2:SCRATCH_EN: 0
; COMPUTE_PGM_RSRC2:USER_SGPR: 6
; COMPUTE_PGM_RSRC2:TRAP_HANDLER: 0
; COMPUTE_PGM_RSRC2:TGID_X_EN: 1
; COMPUTE_PGM_RSRC2:TGID_Y_EN: 0
; COMPUTE_PGM_RSRC2:TGID_Z_EN: 0
; COMPUTE_PGM_RSRC2:TIDIG_COMP_CNT: 0
	.section	.text._ZN9rocsolver6v33100L13conj_in_placeI19rocblas_complex_numIdEiPKPS3_TnNSt9enable_ifIX18rocblas_is_complexIT_EEiE4typeELi0EEEvT0_SB_T1_lSB_l,"axG",@progbits,_ZN9rocsolver6v33100L13conj_in_placeI19rocblas_complex_numIdEiPKPS3_TnNSt9enable_ifIX18rocblas_is_complexIT_EEiE4typeELi0EEEvT0_SB_T1_lSB_l,comdat
	.globl	_ZN9rocsolver6v33100L13conj_in_placeI19rocblas_complex_numIdEiPKPS3_TnNSt9enable_ifIX18rocblas_is_complexIT_EEiE4typeELi0EEEvT0_SB_T1_lSB_l ; -- Begin function _ZN9rocsolver6v33100L13conj_in_placeI19rocblas_complex_numIdEiPKPS3_TnNSt9enable_ifIX18rocblas_is_complexIT_EEiE4typeELi0EEEvT0_SB_T1_lSB_l
	.p2align	8
	.type	_ZN9rocsolver6v33100L13conj_in_placeI19rocblas_complex_numIdEiPKPS3_TnNSt9enable_ifIX18rocblas_is_complexIT_EEiE4typeELi0EEEvT0_SB_T1_lSB_l,@function
_ZN9rocsolver6v33100L13conj_in_placeI19rocblas_complex_numIdEiPKPS3_TnNSt9enable_ifIX18rocblas_is_complexIT_EEiE4typeELi0EEEvT0_SB_T1_lSB_l: ; @_ZN9rocsolver6v33100L13conj_in_placeI19rocblas_complex_numIdEiPKPS3_TnNSt9enable_ifIX18rocblas_is_complexIT_EEiE4typeELi0EEEvT0_SB_T1_lSB_l
; %bb.0:
	s_load_dword s2, s[4:5], 0x34
	s_load_dwordx2 s[0:1], s[4:5], 0x0
	s_waitcnt lgkmcnt(0)
	s_lshr_b32 s3, s2, 16
	s_and_b32 s2, s2, 0xffff
	s_mul_i32 s6, s6, s2
	s_mul_i32 s7, s7, s3
	v_add_u32_e32 v0, s6, v0
	v_add_u32_e32 v1, s7, v1
	v_cmp_gt_i32_e32 vcc, s0, v0
	v_cmp_gt_i32_e64 s[0:1], s1, v1
	s_and_b64 s[0:1], vcc, s[0:1]
	s_and_saveexec_b64 s[2:3], s[0:1]
	s_cbranch_execz .LBB47_2
; %bb.1:
	s_load_dwordx4 s[0:3], s[4:5], 0x8
	s_load_dword s6, s[4:5], 0x18
	s_ashr_i32 s9, s8, 31
	s_lshl_b64 s[4:5], s[8:9], 3
	s_waitcnt lgkmcnt(0)
	s_add_u32 s0, s0, s4
	s_addc_u32 s1, s1, s5
	s_load_dwordx2 s[0:1], s[0:1], 0x0
	v_mad_i64_i32 v[5:6], s[4:5], v1, s6, 0
	s_lshl_b64 s[2:3], s[2:3], 4
	v_ashrrev_i32_e32 v1, 31, v0
	v_lshlrev_b64 v[2:3], 4, v[5:6]
	s_waitcnt lgkmcnt(0)
	s_add_u32 s0, s0, s2
	s_addc_u32 s1, s1, s3
	v_mov_b32_e32 v4, s1
	v_add_co_u32_e32 v6, vcc, s0, v2
	v_lshlrev_b64 v[1:2], 4, v[0:1]
	v_addc_co_u32_e32 v3, vcc, v4, v3, vcc
	v_add_co_u32_e32 v1, vcc, v6, v1
	v_addc_co_u32_e32 v2, vcc, v3, v2, vcc
	flat_load_dwordx4 v[1:4], v[1:2]
	v_add_u32_e32 v5, v5, v0
	v_ashrrev_i32_e32 v6, 31, v5
	v_lshlrev_b64 v[5:6], 4, v[5:6]
	v_mov_b32_e32 v0, s1
	v_add_co_u32_e32 v5, vcc, s0, v5
	v_addc_co_u32_e32 v6, vcc, v0, v6, vcc
	s_waitcnt vmcnt(0) lgkmcnt(0)
	v_xor_b32_e32 v4, 0x80000000, v4
	flat_store_dwordx4 v[5:6], v[1:4]
.LBB47_2:
	s_endpgm
	.section	.rodata,"a",@progbits
	.p2align	6, 0x0
	.amdhsa_kernel _ZN9rocsolver6v33100L13conj_in_placeI19rocblas_complex_numIdEiPKPS3_TnNSt9enable_ifIX18rocblas_is_complexIT_EEiE4typeELi0EEEvT0_SB_T1_lSB_l
		.amdhsa_group_segment_fixed_size 0
		.amdhsa_private_segment_fixed_size 0
		.amdhsa_kernarg_size 296
		.amdhsa_user_sgpr_count 6
		.amdhsa_user_sgpr_private_segment_buffer 1
		.amdhsa_user_sgpr_dispatch_ptr 0
		.amdhsa_user_sgpr_queue_ptr 0
		.amdhsa_user_sgpr_kernarg_segment_ptr 1
		.amdhsa_user_sgpr_dispatch_id 0
		.amdhsa_user_sgpr_flat_scratch_init 0
		.amdhsa_user_sgpr_private_segment_size 0
		.amdhsa_uses_dynamic_stack 0
		.amdhsa_system_sgpr_private_segment_wavefront_offset 0
		.amdhsa_system_sgpr_workgroup_id_x 1
		.amdhsa_system_sgpr_workgroup_id_y 1
		.amdhsa_system_sgpr_workgroup_id_z 1
		.amdhsa_system_sgpr_workgroup_info 0
		.amdhsa_system_vgpr_workitem_id 1
		.amdhsa_next_free_vgpr 7
		.amdhsa_next_free_sgpr 10
		.amdhsa_reserve_vcc 1
		.amdhsa_reserve_flat_scratch 0
		.amdhsa_float_round_mode_32 0
		.amdhsa_float_round_mode_16_64 0
		.amdhsa_float_denorm_mode_32 3
		.amdhsa_float_denorm_mode_16_64 3
		.amdhsa_dx10_clamp 1
		.amdhsa_ieee_mode 1
		.amdhsa_fp16_overflow 0
		.amdhsa_exception_fp_ieee_invalid_op 0
		.amdhsa_exception_fp_denorm_src 0
		.amdhsa_exception_fp_ieee_div_zero 0
		.amdhsa_exception_fp_ieee_overflow 0
		.amdhsa_exception_fp_ieee_underflow 0
		.amdhsa_exception_fp_ieee_inexact 0
		.amdhsa_exception_int_div_zero 0
	.end_amdhsa_kernel
	.section	.text._ZN9rocsolver6v33100L13conj_in_placeI19rocblas_complex_numIdEiPKPS3_TnNSt9enable_ifIX18rocblas_is_complexIT_EEiE4typeELi0EEEvT0_SB_T1_lSB_l,"axG",@progbits,_ZN9rocsolver6v33100L13conj_in_placeI19rocblas_complex_numIdEiPKPS3_TnNSt9enable_ifIX18rocblas_is_complexIT_EEiE4typeELi0EEEvT0_SB_T1_lSB_l,comdat
.Lfunc_end47:
	.size	_ZN9rocsolver6v33100L13conj_in_placeI19rocblas_complex_numIdEiPKPS3_TnNSt9enable_ifIX18rocblas_is_complexIT_EEiE4typeELi0EEEvT0_SB_T1_lSB_l, .Lfunc_end47-_ZN9rocsolver6v33100L13conj_in_placeI19rocblas_complex_numIdEiPKPS3_TnNSt9enable_ifIX18rocblas_is_complexIT_EEiE4typeELi0EEEvT0_SB_T1_lSB_l
                                        ; -- End function
	.set _ZN9rocsolver6v33100L13conj_in_placeI19rocblas_complex_numIdEiPKPS3_TnNSt9enable_ifIX18rocblas_is_complexIT_EEiE4typeELi0EEEvT0_SB_T1_lSB_l.num_vgpr, 7
	.set _ZN9rocsolver6v33100L13conj_in_placeI19rocblas_complex_numIdEiPKPS3_TnNSt9enable_ifIX18rocblas_is_complexIT_EEiE4typeELi0EEEvT0_SB_T1_lSB_l.num_agpr, 0
	.set _ZN9rocsolver6v33100L13conj_in_placeI19rocblas_complex_numIdEiPKPS3_TnNSt9enable_ifIX18rocblas_is_complexIT_EEiE4typeELi0EEEvT0_SB_T1_lSB_l.numbered_sgpr, 10
	.set _ZN9rocsolver6v33100L13conj_in_placeI19rocblas_complex_numIdEiPKPS3_TnNSt9enable_ifIX18rocblas_is_complexIT_EEiE4typeELi0EEEvT0_SB_T1_lSB_l.num_named_barrier, 0
	.set _ZN9rocsolver6v33100L13conj_in_placeI19rocblas_complex_numIdEiPKPS3_TnNSt9enable_ifIX18rocblas_is_complexIT_EEiE4typeELi0EEEvT0_SB_T1_lSB_l.private_seg_size, 0
	.set _ZN9rocsolver6v33100L13conj_in_placeI19rocblas_complex_numIdEiPKPS3_TnNSt9enable_ifIX18rocblas_is_complexIT_EEiE4typeELi0EEEvT0_SB_T1_lSB_l.uses_vcc, 1
	.set _ZN9rocsolver6v33100L13conj_in_placeI19rocblas_complex_numIdEiPKPS3_TnNSt9enable_ifIX18rocblas_is_complexIT_EEiE4typeELi0EEEvT0_SB_T1_lSB_l.uses_flat_scratch, 0
	.set _ZN9rocsolver6v33100L13conj_in_placeI19rocblas_complex_numIdEiPKPS3_TnNSt9enable_ifIX18rocblas_is_complexIT_EEiE4typeELi0EEEvT0_SB_T1_lSB_l.has_dyn_sized_stack, 0
	.set _ZN9rocsolver6v33100L13conj_in_placeI19rocblas_complex_numIdEiPKPS3_TnNSt9enable_ifIX18rocblas_is_complexIT_EEiE4typeELi0EEEvT0_SB_T1_lSB_l.has_recursion, 0
	.set _ZN9rocsolver6v33100L13conj_in_placeI19rocblas_complex_numIdEiPKPS3_TnNSt9enable_ifIX18rocblas_is_complexIT_EEiE4typeELi0EEEvT0_SB_T1_lSB_l.has_indirect_call, 0
	.section	.AMDGPU.csdata,"",@progbits
; Kernel info:
; codeLenInByte = 240
; TotalNumSgprs: 14
; NumVgprs: 7
; ScratchSize: 0
; MemoryBound: 0
; FloatMode: 240
; IeeeMode: 1
; LDSByteSize: 0 bytes/workgroup (compile time only)
; SGPRBlocks: 1
; VGPRBlocks: 1
; NumSGPRsForWavesPerEU: 14
; NumVGPRsForWavesPerEU: 7
; Occupancy: 10
; WaveLimiterHint : 1
; COMPUTE_PGM_RSRC2:SCRATCH_EN: 0
; COMPUTE_PGM_RSRC2:USER_SGPR: 6
; COMPUTE_PGM_RSRC2:TRAP_HANDLER: 0
; COMPUTE_PGM_RSRC2:TGID_X_EN: 1
; COMPUTE_PGM_RSRC2:TGID_Y_EN: 1
; COMPUTE_PGM_RSRC2:TGID_Z_EN: 1
; COMPUTE_PGM_RSRC2:TIDIG_COMP_CNT: 1
	.section	.text._ZN9rocsolver6v33100L16reset_batch_infoI19rocblas_complex_numIdEiiPS3_EEvT2_lT0_T1_,"axG",@progbits,_ZN9rocsolver6v33100L16reset_batch_infoI19rocblas_complex_numIdEiiPS3_EEvT2_lT0_T1_,comdat
	.globl	_ZN9rocsolver6v33100L16reset_batch_infoI19rocblas_complex_numIdEiiPS3_EEvT2_lT0_T1_ ; -- Begin function _ZN9rocsolver6v33100L16reset_batch_infoI19rocblas_complex_numIdEiiPS3_EEvT2_lT0_T1_
	.p2align	8
	.type	_ZN9rocsolver6v33100L16reset_batch_infoI19rocblas_complex_numIdEiiPS3_EEvT2_lT0_T1_,@function
_ZN9rocsolver6v33100L16reset_batch_infoI19rocblas_complex_numIdEiiPS3_EEvT2_lT0_T1_: ; @_ZN9rocsolver6v33100L16reset_batch_infoI19rocblas_complex_numIdEiiPS3_EEvT2_lT0_T1_
; %bb.0:
	s_load_dword s2, s[4:5], 0x24
	s_load_dwordx2 s[0:1], s[4:5], 0x10
	s_waitcnt lgkmcnt(0)
	s_and_b32 s2, s2, 0xffff
	s_mul_i32 s6, s6, s2
	v_add_u32_e32 v0, s6, v0
	v_cmp_gt_i32_e32 vcc, s0, v0
	s_and_saveexec_b64 s[2:3], vcc
	s_cbranch_execz .LBB48_2
; %bb.1:
	s_load_dwordx4 s[8:11], s[4:5], 0x0
	s_ashr_i32 s0, s7, 31
	v_ashrrev_i32_e32 v1, 31, v0
	v_lshlrev_b64 v[2:3], 4, v[0:1]
	v_cvt_f64_i32_e32 v[0:1], s1
	s_waitcnt lgkmcnt(0)
	s_mul_hi_u32 s3, s10, s7
	s_mul_i32 s0, s10, s0
	s_mul_i32 s4, s11, s7
	s_add_i32 s0, s3, s0
	s_mul_i32 s2, s10, s7
	s_add_i32 s3, s0, s4
	s_lshl_b64 s[2:3], s[2:3], 4
	s_add_u32 s0, s8, s2
	s_addc_u32 s2, s9, s3
	v_mov_b32_e32 v5, s2
	v_add_co_u32_e32 v4, vcc, s0, v2
	v_mov_b32_e32 v2, 0
	v_addc_co_u32_e32 v5, vcc, v5, v3, vcc
	v_mov_b32_e32 v3, v2
	global_store_dwordx4 v[4:5], v[0:3], off
.LBB48_2:
	s_endpgm
	.section	.rodata,"a",@progbits
	.p2align	6, 0x0
	.amdhsa_kernel _ZN9rocsolver6v33100L16reset_batch_infoI19rocblas_complex_numIdEiiPS3_EEvT2_lT0_T1_
		.amdhsa_group_segment_fixed_size 0
		.amdhsa_private_segment_fixed_size 0
		.amdhsa_kernarg_size 280
		.amdhsa_user_sgpr_count 6
		.amdhsa_user_sgpr_private_segment_buffer 1
		.amdhsa_user_sgpr_dispatch_ptr 0
		.amdhsa_user_sgpr_queue_ptr 0
		.amdhsa_user_sgpr_kernarg_segment_ptr 1
		.amdhsa_user_sgpr_dispatch_id 0
		.amdhsa_user_sgpr_flat_scratch_init 0
		.amdhsa_user_sgpr_private_segment_size 0
		.amdhsa_uses_dynamic_stack 0
		.amdhsa_system_sgpr_private_segment_wavefront_offset 0
		.amdhsa_system_sgpr_workgroup_id_x 1
		.amdhsa_system_sgpr_workgroup_id_y 1
		.amdhsa_system_sgpr_workgroup_id_z 0
		.amdhsa_system_sgpr_workgroup_info 0
		.amdhsa_system_vgpr_workitem_id 0
		.amdhsa_next_free_vgpr 6
		.amdhsa_next_free_sgpr 12
		.amdhsa_reserve_vcc 1
		.amdhsa_reserve_flat_scratch 0
		.amdhsa_float_round_mode_32 0
		.amdhsa_float_round_mode_16_64 0
		.amdhsa_float_denorm_mode_32 3
		.amdhsa_float_denorm_mode_16_64 3
		.amdhsa_dx10_clamp 1
		.amdhsa_ieee_mode 1
		.amdhsa_fp16_overflow 0
		.amdhsa_exception_fp_ieee_invalid_op 0
		.amdhsa_exception_fp_denorm_src 0
		.amdhsa_exception_fp_ieee_div_zero 0
		.amdhsa_exception_fp_ieee_overflow 0
		.amdhsa_exception_fp_ieee_underflow 0
		.amdhsa_exception_fp_ieee_inexact 0
		.amdhsa_exception_int_div_zero 0
	.end_amdhsa_kernel
	.section	.text._ZN9rocsolver6v33100L16reset_batch_infoI19rocblas_complex_numIdEiiPS3_EEvT2_lT0_T1_,"axG",@progbits,_ZN9rocsolver6v33100L16reset_batch_infoI19rocblas_complex_numIdEiiPS3_EEvT2_lT0_T1_,comdat
.Lfunc_end48:
	.size	_ZN9rocsolver6v33100L16reset_batch_infoI19rocblas_complex_numIdEiiPS3_EEvT2_lT0_T1_, .Lfunc_end48-_ZN9rocsolver6v33100L16reset_batch_infoI19rocblas_complex_numIdEiiPS3_EEvT2_lT0_T1_
                                        ; -- End function
	.set _ZN9rocsolver6v33100L16reset_batch_infoI19rocblas_complex_numIdEiiPS3_EEvT2_lT0_T1_.num_vgpr, 6
	.set _ZN9rocsolver6v33100L16reset_batch_infoI19rocblas_complex_numIdEiiPS3_EEvT2_lT0_T1_.num_agpr, 0
	.set _ZN9rocsolver6v33100L16reset_batch_infoI19rocblas_complex_numIdEiiPS3_EEvT2_lT0_T1_.numbered_sgpr, 12
	.set _ZN9rocsolver6v33100L16reset_batch_infoI19rocblas_complex_numIdEiiPS3_EEvT2_lT0_T1_.num_named_barrier, 0
	.set _ZN9rocsolver6v33100L16reset_batch_infoI19rocblas_complex_numIdEiiPS3_EEvT2_lT0_T1_.private_seg_size, 0
	.set _ZN9rocsolver6v33100L16reset_batch_infoI19rocblas_complex_numIdEiiPS3_EEvT2_lT0_T1_.uses_vcc, 1
	.set _ZN9rocsolver6v33100L16reset_batch_infoI19rocblas_complex_numIdEiiPS3_EEvT2_lT0_T1_.uses_flat_scratch, 0
	.set _ZN9rocsolver6v33100L16reset_batch_infoI19rocblas_complex_numIdEiiPS3_EEvT2_lT0_T1_.has_dyn_sized_stack, 0
	.set _ZN9rocsolver6v33100L16reset_batch_infoI19rocblas_complex_numIdEiiPS3_EEvT2_lT0_T1_.has_recursion, 0
	.set _ZN9rocsolver6v33100L16reset_batch_infoI19rocblas_complex_numIdEiiPS3_EEvT2_lT0_T1_.has_indirect_call, 0
	.section	.AMDGPU.csdata,"",@progbits
; Kernel info:
; codeLenInByte = 148
; TotalNumSgprs: 16
; NumVgprs: 6
; ScratchSize: 0
; MemoryBound: 0
; FloatMode: 240
; IeeeMode: 1
; LDSByteSize: 0 bytes/workgroup (compile time only)
; SGPRBlocks: 1
; VGPRBlocks: 1
; NumSGPRsForWavesPerEU: 16
; NumVGPRsForWavesPerEU: 6
; Occupancy: 10
; WaveLimiterHint : 0
; COMPUTE_PGM_RSRC2:SCRATCH_EN: 0
; COMPUTE_PGM_RSRC2:USER_SGPR: 6
; COMPUTE_PGM_RSRC2:TRAP_HANDLER: 0
; COMPUTE_PGM_RSRC2:TGID_X_EN: 1
; COMPUTE_PGM_RSRC2:TGID_Y_EN: 1
; COMPUTE_PGM_RSRC2:TGID_Z_EN: 0
; COMPUTE_PGM_RSRC2:TIDIG_COMP_CNT: 0
	.section	.text._ZN9rocsolver6v33100L8set_diagI19rocblas_complex_numIdEidPKPS3_TnNSt9enable_ifIXaa18rocblas_is_complexIT_Ent18rocblas_is_complexIT1_EEiE4typeELi0EEEvPS9_llT2_lT0_lSE_b,"axG",@progbits,_ZN9rocsolver6v33100L8set_diagI19rocblas_complex_numIdEidPKPS3_TnNSt9enable_ifIXaa18rocblas_is_complexIT_Ent18rocblas_is_complexIT1_EEiE4typeELi0EEEvPS9_llT2_lT0_lSE_b,comdat
	.globl	_ZN9rocsolver6v33100L8set_diagI19rocblas_complex_numIdEidPKPS3_TnNSt9enable_ifIXaa18rocblas_is_complexIT_Ent18rocblas_is_complexIT1_EEiE4typeELi0EEEvPS9_llT2_lT0_lSE_b ; -- Begin function _ZN9rocsolver6v33100L8set_diagI19rocblas_complex_numIdEidPKPS3_TnNSt9enable_ifIXaa18rocblas_is_complexIT_Ent18rocblas_is_complexIT1_EEiE4typeELi0EEEvPS9_llT2_lT0_lSE_b
	.p2align	8
	.type	_ZN9rocsolver6v33100L8set_diagI19rocblas_complex_numIdEidPKPS3_TnNSt9enable_ifIXaa18rocblas_is_complexIT_Ent18rocblas_is_complexIT1_EEiE4typeELi0EEEvPS9_llT2_lT0_lSE_b,@function
_ZN9rocsolver6v33100L8set_diagI19rocblas_complex_numIdEidPKPS3_TnNSt9enable_ifIXaa18rocblas_is_complexIT_Ent18rocblas_is_complexIT1_EEiE4typeELi0EEEvPS9_llT2_lT0_lSE_b: ; @_ZN9rocsolver6v33100L8set_diagI19rocblas_complex_numIdEidPKPS3_TnNSt9enable_ifIXaa18rocblas_is_complexIT_Ent18rocblas_is_complexIT1_EEiE4typeELi0EEEvPS9_llT2_lT0_lSE_b
; %bb.0:
	s_load_dword s2, s[4:5], 0x4c
	s_load_dwordx2 s[0:1], s[4:5], 0x38
	s_waitcnt lgkmcnt(0)
	s_lshr_b32 s2, s2, 16
	s_mul_i32 s7, s7, s2
	v_add_u32_e32 v2, s7, v1
	v_cmp_gt_i32_e32 vcc, s0, v2
	s_and_saveexec_b64 s[2:3], vcc
	s_cbranch_execz .LBB49_5
; %bb.1:
	s_load_dwordx8 s[8:15], s[4:5], 0x0
	s_load_dwordx2 s[2:3], s[4:5], 0x20
	s_load_dword s16, s[4:5], 0x28
	s_bitcmp1_b32 s1, 0
	s_cselect_b64 s[0:1], -1, 0
	s_ashr_i32 s7, s6, 31
	s_lshl_b64 s[4:5], s[6:7], 3
	s_waitcnt lgkmcnt(0)
	s_add_u32 s4, s14, s4
	s_addc_u32 s5, s15, s5
	s_load_dwordx2 s[4:5], s[4:5], 0x0
	v_mad_u64_u32 v[0:1], s[14:15], v2, s16, v[2:3]
	s_lshl_b64 s[2:3], s[2:3], 4
	v_ashrrev_i32_e32 v1, 31, v0
	s_waitcnt lgkmcnt(0)
	s_add_u32 s2, s4, s2
	v_lshlrev_b64 v[0:1], 4, v[0:1]
	s_addc_u32 s3, s5, s3
	v_mov_b32_e32 v3, s3
	v_add_co_u32_e32 v4, vcc, s2, v0
	v_addc_co_u32_e32 v5, vcc, v3, v1, vcc
	flat_load_dwordx2 v[0:1], v[4:5]
	s_mul_hi_u32 s3, s12, s6
	s_mul_i32 s4, s12, s7
	s_mul_i32 s5, s13, s6
	s_add_i32 s3, s3, s4
	s_mul_i32 s2, s12, s6
	s_add_i32 s3, s3, s5
	s_lshl_b64 s[2:3], s[2:3], 3
	s_add_u32 s4, s8, s2
	v_ashrrev_i32_e32 v3, 31, v2
	s_addc_u32 s5, s9, s3
	s_lshl_b64 s[2:3], s[10:11], 3
	v_lshlrev_b64 v[2:3], 3, v[2:3]
	s_add_u32 s2, s4, s2
	s_addc_u32 s3, s5, s3
	s_and_b64 vcc, exec, s[0:1]
	v_mov_b32_e32 v6, s3
	v_add_co_u32_e64 v2, s[0:1], s2, v2
	v_addc_co_u32_e64 v3, s[0:1], v6, v3, s[0:1]
	s_waitcnt vmcnt(0) lgkmcnt(0)
	global_store_dwordx2 v[2:3], v[0:1], off
	s_cbranch_vccnz .LBB49_3
; %bb.2:
	flat_load_dwordx2 v[2:3], v[4:5] offset:8
	s_branch .LBB49_4
.LBB49_3:
	v_mov_b32_e32 v0, 0
	v_mov_b32_e32 v2, 0
	;; [unrolled: 1-line block ×4, first 2 shown]
.LBB49_4:
	s_waitcnt vmcnt(0) lgkmcnt(0)
	flat_store_dwordx4 v[4:5], v[0:3]
.LBB49_5:
	s_endpgm
	.section	.rodata,"a",@progbits
	.p2align	6, 0x0
	.amdhsa_kernel _ZN9rocsolver6v33100L8set_diagI19rocblas_complex_numIdEidPKPS3_TnNSt9enable_ifIXaa18rocblas_is_complexIT_Ent18rocblas_is_complexIT1_EEiE4typeELi0EEEvPS9_llT2_lT0_lSE_b
		.amdhsa_group_segment_fixed_size 0
		.amdhsa_private_segment_fixed_size 0
		.amdhsa_kernarg_size 320
		.amdhsa_user_sgpr_count 6
		.amdhsa_user_sgpr_private_segment_buffer 1
		.amdhsa_user_sgpr_dispatch_ptr 0
		.amdhsa_user_sgpr_queue_ptr 0
		.amdhsa_user_sgpr_kernarg_segment_ptr 1
		.amdhsa_user_sgpr_dispatch_id 0
		.amdhsa_user_sgpr_flat_scratch_init 0
		.amdhsa_user_sgpr_private_segment_size 0
		.amdhsa_uses_dynamic_stack 0
		.amdhsa_system_sgpr_private_segment_wavefront_offset 0
		.amdhsa_system_sgpr_workgroup_id_x 1
		.amdhsa_system_sgpr_workgroup_id_y 1
		.amdhsa_system_sgpr_workgroup_id_z 0
		.amdhsa_system_sgpr_workgroup_info 0
		.amdhsa_system_vgpr_workitem_id 1
		.amdhsa_next_free_vgpr 7
		.amdhsa_next_free_sgpr 17
		.amdhsa_reserve_vcc 1
		.amdhsa_reserve_flat_scratch 0
		.amdhsa_float_round_mode_32 0
		.amdhsa_float_round_mode_16_64 0
		.amdhsa_float_denorm_mode_32 3
		.amdhsa_float_denorm_mode_16_64 3
		.amdhsa_dx10_clamp 1
		.amdhsa_ieee_mode 1
		.amdhsa_fp16_overflow 0
		.amdhsa_exception_fp_ieee_invalid_op 0
		.amdhsa_exception_fp_denorm_src 0
		.amdhsa_exception_fp_ieee_div_zero 0
		.amdhsa_exception_fp_ieee_overflow 0
		.amdhsa_exception_fp_ieee_underflow 0
		.amdhsa_exception_fp_ieee_inexact 0
		.amdhsa_exception_int_div_zero 0
	.end_amdhsa_kernel
	.section	.text._ZN9rocsolver6v33100L8set_diagI19rocblas_complex_numIdEidPKPS3_TnNSt9enable_ifIXaa18rocblas_is_complexIT_Ent18rocblas_is_complexIT1_EEiE4typeELi0EEEvPS9_llT2_lT0_lSE_b,"axG",@progbits,_ZN9rocsolver6v33100L8set_diagI19rocblas_complex_numIdEidPKPS3_TnNSt9enable_ifIXaa18rocblas_is_complexIT_Ent18rocblas_is_complexIT1_EEiE4typeELi0EEEvPS9_llT2_lT0_lSE_b,comdat
.Lfunc_end49:
	.size	_ZN9rocsolver6v33100L8set_diagI19rocblas_complex_numIdEidPKPS3_TnNSt9enable_ifIXaa18rocblas_is_complexIT_Ent18rocblas_is_complexIT1_EEiE4typeELi0EEEvPS9_llT2_lT0_lSE_b, .Lfunc_end49-_ZN9rocsolver6v33100L8set_diagI19rocblas_complex_numIdEidPKPS3_TnNSt9enable_ifIXaa18rocblas_is_complexIT_Ent18rocblas_is_complexIT1_EEiE4typeELi0EEEvPS9_llT2_lT0_lSE_b
                                        ; -- End function
	.set _ZN9rocsolver6v33100L8set_diagI19rocblas_complex_numIdEidPKPS3_TnNSt9enable_ifIXaa18rocblas_is_complexIT_Ent18rocblas_is_complexIT1_EEiE4typeELi0EEEvPS9_llT2_lT0_lSE_b.num_vgpr, 7
	.set _ZN9rocsolver6v33100L8set_diagI19rocblas_complex_numIdEidPKPS3_TnNSt9enable_ifIXaa18rocblas_is_complexIT_Ent18rocblas_is_complexIT1_EEiE4typeELi0EEEvPS9_llT2_lT0_lSE_b.num_agpr, 0
	.set _ZN9rocsolver6v33100L8set_diagI19rocblas_complex_numIdEidPKPS3_TnNSt9enable_ifIXaa18rocblas_is_complexIT_Ent18rocblas_is_complexIT1_EEiE4typeELi0EEEvPS9_llT2_lT0_lSE_b.numbered_sgpr, 17
	.set _ZN9rocsolver6v33100L8set_diagI19rocblas_complex_numIdEidPKPS3_TnNSt9enable_ifIXaa18rocblas_is_complexIT_Ent18rocblas_is_complexIT1_EEiE4typeELi0EEEvPS9_llT2_lT0_lSE_b.num_named_barrier, 0
	.set _ZN9rocsolver6v33100L8set_diagI19rocblas_complex_numIdEidPKPS3_TnNSt9enable_ifIXaa18rocblas_is_complexIT_Ent18rocblas_is_complexIT1_EEiE4typeELi0EEEvPS9_llT2_lT0_lSE_b.private_seg_size, 0
	.set _ZN9rocsolver6v33100L8set_diagI19rocblas_complex_numIdEidPKPS3_TnNSt9enable_ifIXaa18rocblas_is_complexIT_Ent18rocblas_is_complexIT1_EEiE4typeELi0EEEvPS9_llT2_lT0_lSE_b.uses_vcc, 1
	.set _ZN9rocsolver6v33100L8set_diagI19rocblas_complex_numIdEidPKPS3_TnNSt9enable_ifIXaa18rocblas_is_complexIT_Ent18rocblas_is_complexIT1_EEiE4typeELi0EEEvPS9_llT2_lT0_lSE_b.uses_flat_scratch, 0
	.set _ZN9rocsolver6v33100L8set_diagI19rocblas_complex_numIdEidPKPS3_TnNSt9enable_ifIXaa18rocblas_is_complexIT_Ent18rocblas_is_complexIT1_EEiE4typeELi0EEEvPS9_llT2_lT0_lSE_b.has_dyn_sized_stack, 0
	.set _ZN9rocsolver6v33100L8set_diagI19rocblas_complex_numIdEidPKPS3_TnNSt9enable_ifIXaa18rocblas_is_complexIT_Ent18rocblas_is_complexIT1_EEiE4typeELi0EEEvPS9_llT2_lT0_lSE_b.has_recursion, 0
	.set _ZN9rocsolver6v33100L8set_diagI19rocblas_complex_numIdEidPKPS3_TnNSt9enable_ifIXaa18rocblas_is_complexIT_Ent18rocblas_is_complexIT1_EEiE4typeELi0EEEvPS9_llT2_lT0_lSE_b.has_indirect_call, 0
	.section	.AMDGPU.csdata,"",@progbits
; Kernel info:
; codeLenInByte = 308
; TotalNumSgprs: 21
; NumVgprs: 7
; ScratchSize: 0
; MemoryBound: 0
; FloatMode: 240
; IeeeMode: 1
; LDSByteSize: 0 bytes/workgroup (compile time only)
; SGPRBlocks: 2
; VGPRBlocks: 1
; NumSGPRsForWavesPerEU: 21
; NumVGPRsForWavesPerEU: 7
; Occupancy: 10
; WaveLimiterHint : 1
; COMPUTE_PGM_RSRC2:SCRATCH_EN: 0
; COMPUTE_PGM_RSRC2:USER_SGPR: 6
; COMPUTE_PGM_RSRC2:TRAP_HANDLER: 0
; COMPUTE_PGM_RSRC2:TGID_X_EN: 1
; COMPUTE_PGM_RSRC2:TGID_Y_EN: 1
; COMPUTE_PGM_RSRC2:TGID_Z_EN: 0
; COMPUTE_PGM_RSRC2:TIDIG_COMP_CNT: 1
	.section	.text._ZN9rocsolver6v33100L11set_taubetaI19rocblas_complex_numIdEidPKPS3_EEvPT_lS8_T2_llPT1_ll,"axG",@progbits,_ZN9rocsolver6v33100L11set_taubetaI19rocblas_complex_numIdEidPKPS3_EEvPT_lS8_T2_llPT1_ll,comdat
	.globl	_ZN9rocsolver6v33100L11set_taubetaI19rocblas_complex_numIdEidPKPS3_EEvPT_lS8_T2_llPT1_ll ; -- Begin function _ZN9rocsolver6v33100L11set_taubetaI19rocblas_complex_numIdEidPKPS3_EEvPT_lS8_T2_llPT1_ll
	.p2align	8
	.type	_ZN9rocsolver6v33100L11set_taubetaI19rocblas_complex_numIdEidPKPS3_EEvPT_lS8_T2_llPT1_ll,@function
_ZN9rocsolver6v33100L11set_taubetaI19rocblas_complex_numIdEidPKPS3_EEvPT_lS8_T2_llPT1_ll: ; @_ZN9rocsolver6v33100L11set_taubetaI19rocblas_complex_numIdEidPKPS3_EEvPT_lS8_T2_llPT1_ll
; %bb.0:
	s_load_dwordx8 s[8:15], s[4:5], 0x0
	s_load_dwordx2 s[18:19], s[4:5], 0x20
	s_load_dwordx4 s[0:3], s[4:5], 0x30
	s_ashr_i32 s7, s6, 31
	s_lshl_b64 s[16:17], s[6:7], 3
	s_waitcnt lgkmcnt(0)
	s_add_u32 s14, s14, s16
	s_addc_u32 s15, s15, s17
	s_load_dwordx2 s[20:21], s[14:15], 0x0
	s_mov_b64 s[16:17], 0
	s_cmp_eq_u64 s[0:1], 0
	s_mov_b64 s[14:15], 0
	s_cbranch_scc1 .LBB50_2
; %bb.1:
	s_load_dwordx2 s[4:5], s[4:5], 0x40
	s_waitcnt lgkmcnt(0)
	s_mul_i32 s14, s4, s7
	s_mul_hi_u32 s15, s4, s6
	s_mul_i32 s5, s5, s6
	s_add_i32 s14, s15, s14
	s_mul_i32 s4, s4, s6
	s_add_i32 s5, s14, s5
	s_lshl_b64 s[4:5], s[4:5], 3
	s_add_u32 s4, s0, s4
	s_addc_u32 s5, s1, s5
	s_lshl_b64 s[0:1], s[2:3], 3
	s_add_u32 s14, s4, s0
	s_addc_u32 s15, s5, s1
.LBB50_2:
	s_lshl_b64 s[0:1], s[18:19], 4
	s_waitcnt lgkmcnt(0)
	s_add_u32 s2, s20, s0
	s_addc_u32 s3, s21, s1
	v_mov_b32_e32 v0, s2
	v_mov_b32_e32 v1, s3
	flat_load_dwordx2 v[2:3], v[0:1] offset:8
	s_mul_i32 s1, s10, s7
	s_mul_hi_u32 s4, s10, s6
	s_mul_i32 s5, s11, s6
	s_add_i32 s1, s4, s1
	s_mul_i32 s0, s10, s6
	s_add_i32 s1, s1, s5
	s_lshl_b64 s[0:1], s[0:1], 4
	s_add_u32 s4, s8, s0
	s_addc_u32 s5, s9, s1
	s_lshl_b64 s[0:1], s[6:7], 4
	s_add_u32 s6, s12, s0
	s_addc_u32 s7, s13, s1
	s_load_dwordx2 s[0:1], s[6:7], 0x0
	s_cmp_eq_u64 s[14:15], 0
	s_cselect_b64 s[10:11], -1, 0
	s_cmp_lg_u64 s[14:15], 0
	s_cselect_b64 s[8:9], -1, 0
	s_waitcnt lgkmcnt(0)
	v_max_f64 v[0:1], s[0:1], s[0:1]
	s_waitcnt vmcnt(0)
	v_mul_f64 v[4:5], v[2:3], v[2:3]
	v_max_f64 v[0:1], v[0:1], v[4:5]
	v_cmp_nlt_f64_e32 vcc, 0, v[0:1]
                                        ; implicit-def: $vgpr0_vgpr1
	s_and_saveexec_b64 s[12:13], vcc
	s_xor_b64 s[12:13], exec, s[12:13]
	s_cbranch_execnz .LBB50_7
; %bb.3:
	s_or_saveexec_b64 s[12:13], s[12:13]
	s_mov_b64 s[18:19], 0
	s_xor_b64 exec, exec, s[12:13]
	s_cbranch_execnz .LBB50_11
.LBB50_4:
	s_or_b64 exec, exec, s[12:13]
	s_and_saveexec_b64 s[0:1], s[16:17]
	s_cbranch_execnz .LBB50_12
.LBB50_5:
	s_or_b64 exec, exec, s[0:1]
	s_and_saveexec_b64 s[0:1], s[18:19]
	s_cbranch_execnz .LBB50_13
.LBB50_6:
	s_endpgm
.LBB50_7:
	v_mov_b32_e32 v0, 0
	v_mov_b32_e32 v1, 0x3ff00000
	;; [unrolled: 1-line block ×4, first 2 shown]
	global_store_dwordx4 v0, v[0:3], s[6:7]
	s_and_b64 vcc, exec, s[8:9]
	v_mov_b32_e32 v1, v0
	global_store_dwordx4 v0, v[0:3], s[4:5]
	s_cbranch_vccz .LBB50_9
; %bb.8:
	v_mov_b32_e32 v0, s2
	v_mov_b32_e32 v1, s3
	flat_load_dwordx2 v[0:1], v[0:1]
	s_mov_b64 s[16:17], -1
	s_branch .LBB50_10
.LBB50_9:
                                        ; implicit-def: $vgpr0_vgpr1
.LBB50_10:
	s_and_b64 s[16:17], s[16:17], exec
                                        ; implicit-def: $vgpr4_vgpr5
                                        ; implicit-def: $vgpr2_vgpr3
	s_or_saveexec_b64 s[12:13], s[12:13]
	s_mov_b64 s[18:19], 0
	s_xor_b64 exec, exec, s[12:13]
	s_cbranch_execz .LBB50_4
.LBB50_11:
	s_waitcnt vmcnt(0) lgkmcnt(0)
	v_mov_b32_e32 v0, s2
	v_mov_b32_e32 v1, s3
	flat_load_dwordx2 v[6:7], v[0:1]
	v_mov_b32_e32 v8, 0x100
	s_and_b64 s[8:9], s[8:9], exec
	s_waitcnt vmcnt(0) lgkmcnt(0)
	v_fma_f64 v[0:1], v[6:7], v[6:7], v[4:5]
	v_add_f64 v[0:1], s[0:1], v[0:1]
	s_mov_b32 s0, 0
	s_brev_b32 s1, 8
	v_cmp_gt_f64_e32 vcc, s[0:1], v[0:1]
	v_cndmask_b32_e32 v8, 0, v8, vcc
	v_ldexp_f64 v[0:1], v[0:1], v8
	v_rsq_f64_e32 v[8:9], v[0:1]
	v_mul_f64 v[10:11], v[0:1], v[8:9]
	v_mul_f64 v[8:9], v[8:9], 0.5
	v_fma_f64 v[12:13], -v[8:9], v[10:11], 0.5
	v_fma_f64 v[10:11], v[10:11], v[12:13], v[10:11]
	v_fma_f64 v[8:9], v[8:9], v[12:13], v[8:9]
	v_fma_f64 v[12:13], -v[10:11], v[10:11], v[0:1]
	v_fma_f64 v[10:11], v[12:13], v[8:9], v[10:11]
	v_fma_f64 v[12:13], -v[10:11], v[10:11], v[0:1]
	v_fma_f64 v[8:9], v[12:13], v[8:9], v[10:11]
	v_mov_b32_e32 v10, 0xffffff80
	v_mov_b32_e32 v11, 0x260
	v_cndmask_b32_e32 v10, 0, v10, vcc
	v_cmp_class_f64_e32 vcc, v[0:1], v11
	v_ldexp_f64 v[8:9], v[8:9], v10
	v_cndmask_b32_e32 v1, v9, v1, vcc
	v_cndmask_b32_e32 v0, v8, v0, vcc
	v_cmp_le_f64_e32 vcc, 0, v[6:7]
	v_xor_b32_e32 v8, 0x80000000, v1
	v_cndmask_b32_e32 v1, v1, v8, vcc
	v_add_f64 v[8:9], v[6:7], -v[0:1]
	v_add_f64 v[22:23], v[0:1], -v[6:7]
	v_fma_f64 v[10:11], v[8:9], v[8:9], v[4:5]
	v_div_scale_f64 v[6:7], s[18:19], v[0:1], v[0:1], v[22:23]
	s_and_b64 s[18:19], s[10:11], exec
	v_div_scale_f64 v[4:5], s[0:1], v[10:11], v[10:11], v[8:9]
	v_div_scale_f64 v[12:13], s[0:1], v[10:11], v[10:11], -v[2:3]
	v_rcp_f64_e32 v[14:15], v[4:5]
	v_rcp_f64_e32 v[16:17], v[12:13]
	v_fma_f64 v[18:19], -v[4:5], v[14:15], 1.0
	v_fma_f64 v[20:21], -v[12:13], v[16:17], 1.0
	v_fma_f64 v[14:15], v[14:15], v[18:19], v[14:15]
	v_fma_f64 v[16:17], v[16:17], v[20:21], v[16:17]
	v_div_scale_f64 v[20:21], vcc, v[8:9], v[10:11], v[8:9]
	v_fma_f64 v[18:19], -v[4:5], v[14:15], 1.0
	v_fma_f64 v[14:15], v[14:15], v[18:19], v[14:15]
	v_fma_f64 v[18:19], -v[12:13], v[16:17], 1.0
	v_fma_f64 v[16:17], v[16:17], v[18:19], v[16:17]
	v_mul_f64 v[18:19], v[20:21], v[14:15]
	v_fma_f64 v[4:5], -v[4:5], v[18:19], v[20:21]
	v_div_scale_f64 v[20:21], s[0:1], -v[2:3], v[10:11], -v[2:3]
	v_div_fmas_f64 v[4:5], v[4:5], v[14:15], v[18:19]
	v_rcp_f64_e32 v[18:19], v[6:7]
	s_mov_b64 vcc, s[0:1]
	v_mul_f64 v[14:15], v[20:21], v[16:17]
	v_div_fixup_f64 v[4:5], v[4:5], v[10:11], v[8:9]
	v_fma_f64 v[12:13], -v[12:13], v[14:15], v[20:21]
	v_fma_f64 v[20:21], -v[6:7], v[18:19], 1.0
	v_div_fmas_f64 v[12:13], v[12:13], v[16:17], v[14:15]
	v_fma_f64 v[18:19], v[18:19], v[20:21], v[18:19]
	v_div_scale_f64 v[14:15], vcc, v[22:23], v[0:1], v[22:23]
	v_fma_f64 v[16:17], -v[6:7], v[18:19], 1.0
	v_fma_f64 v[16:17], v[18:19], v[16:17], v[18:19]
	v_mul_f64 v[18:19], v[14:15], v[16:17]
	v_fma_f64 v[6:7], -v[6:7], v[18:19], v[14:15]
	v_div_scale_f64 v[14:15], s[0:1], v[0:1], v[0:1], -v[2:3]
	s_andn2_b64 s[0:1], s[16:17], exec
	s_or_b64 s[16:17], s[0:1], s[8:9]
	v_div_fmas_f64 v[16:17], v[6:7], v[16:17], v[18:19]
	v_rcp_f64_e32 v[6:7], v[14:15]
	v_div_fixup_f64 v[8:9], v[16:17], v[0:1], v[22:23]
	v_fma_f64 v[18:19], -v[14:15], v[6:7], 1.0
	v_fma_f64 v[6:7], v[6:7], v[18:19], v[6:7]
	v_fma_f64 v[18:19], -v[14:15], v[6:7], 1.0
	v_fma_f64 v[6:7], v[6:7], v[18:19], v[6:7]
	v_div_scale_f64 v[18:19], vcc, -v[2:3], v[0:1], -v[2:3]
	v_mul_f64 v[20:21], v[18:19], v[6:7]
	v_fma_f64 v[14:15], -v[14:15], v[20:21], v[18:19]
	s_nop 1
	v_div_fmas_f64 v[14:15], v[14:15], v[6:7], v[20:21]
	v_div_fixup_f64 v[6:7], v[12:13], v[10:11], -v[2:3]
	v_div_fixup_f64 v[10:11], v[14:15], v[0:1], -v[2:3]
	v_mov_b32_e32 v2, 0
	global_store_dwordx4 v2, v[4:7], s[6:7]
	global_store_dwordx4 v2, v[8:11], s[4:5]
	s_or_b64 exec, exec, s[12:13]
	s_and_saveexec_b64 s[0:1], s[16:17]
	s_cbranch_execz .LBB50_5
.LBB50_12:
	v_mov_b32_e32 v2, 0
	s_waitcnt vmcnt(0) lgkmcnt(0)
	global_store_dwordx2 v2, v[0:1], s[14:15]
	v_mov_b32_e32 v0, 0
	v_mov_b32_e32 v1, 0x3ff00000
	s_or_b64 s[18:19], s[18:19], exec
	s_or_b64 exec, exec, s[0:1]
	s_and_saveexec_b64 s[0:1], s[18:19]
	s_cbranch_execz .LBB50_6
.LBB50_13:
	v_mov_b32_e32 v2, 0
	v_mov_b32_e32 v5, s3
	;; [unrolled: 1-line block ×4, first 2 shown]
	s_waitcnt vmcnt(0) lgkmcnt(0)
	flat_store_dwordx4 v[4:5], v[0:3]
	s_endpgm
	.section	.rodata,"a",@progbits
	.p2align	6, 0x0
	.amdhsa_kernel _ZN9rocsolver6v33100L11set_taubetaI19rocblas_complex_numIdEidPKPS3_EEvPT_lS8_T2_llPT1_ll
		.amdhsa_group_segment_fixed_size 0
		.amdhsa_private_segment_fixed_size 0
		.amdhsa_kernarg_size 72
		.amdhsa_user_sgpr_count 6
		.amdhsa_user_sgpr_private_segment_buffer 1
		.amdhsa_user_sgpr_dispatch_ptr 0
		.amdhsa_user_sgpr_queue_ptr 0
		.amdhsa_user_sgpr_kernarg_segment_ptr 1
		.amdhsa_user_sgpr_dispatch_id 0
		.amdhsa_user_sgpr_flat_scratch_init 0
		.amdhsa_user_sgpr_private_segment_size 0
		.amdhsa_uses_dynamic_stack 0
		.amdhsa_system_sgpr_private_segment_wavefront_offset 0
		.amdhsa_system_sgpr_workgroup_id_x 1
		.amdhsa_system_sgpr_workgroup_id_y 0
		.amdhsa_system_sgpr_workgroup_id_z 0
		.amdhsa_system_sgpr_workgroup_info 0
		.amdhsa_system_vgpr_workitem_id 0
		.amdhsa_next_free_vgpr 24
		.amdhsa_next_free_sgpr 22
		.amdhsa_reserve_vcc 1
		.amdhsa_reserve_flat_scratch 0
		.amdhsa_float_round_mode_32 0
		.amdhsa_float_round_mode_16_64 0
		.amdhsa_float_denorm_mode_32 3
		.amdhsa_float_denorm_mode_16_64 3
		.amdhsa_dx10_clamp 1
		.amdhsa_ieee_mode 1
		.amdhsa_fp16_overflow 0
		.amdhsa_exception_fp_ieee_invalid_op 0
		.amdhsa_exception_fp_denorm_src 0
		.amdhsa_exception_fp_ieee_div_zero 0
		.amdhsa_exception_fp_ieee_overflow 0
		.amdhsa_exception_fp_ieee_underflow 0
		.amdhsa_exception_fp_ieee_inexact 0
		.amdhsa_exception_int_div_zero 0
	.end_amdhsa_kernel
	.section	.text._ZN9rocsolver6v33100L11set_taubetaI19rocblas_complex_numIdEidPKPS3_EEvPT_lS8_T2_llPT1_ll,"axG",@progbits,_ZN9rocsolver6v33100L11set_taubetaI19rocblas_complex_numIdEidPKPS3_EEvPT_lS8_T2_llPT1_ll,comdat
.Lfunc_end50:
	.size	_ZN9rocsolver6v33100L11set_taubetaI19rocblas_complex_numIdEidPKPS3_EEvPT_lS8_T2_llPT1_ll, .Lfunc_end50-_ZN9rocsolver6v33100L11set_taubetaI19rocblas_complex_numIdEidPKPS3_EEvPT_lS8_T2_llPT1_ll
                                        ; -- End function
	.set _ZN9rocsolver6v33100L11set_taubetaI19rocblas_complex_numIdEidPKPS3_EEvPT_lS8_T2_llPT1_ll.num_vgpr, 24
	.set _ZN9rocsolver6v33100L11set_taubetaI19rocblas_complex_numIdEidPKPS3_EEvPT_lS8_T2_llPT1_ll.num_agpr, 0
	.set _ZN9rocsolver6v33100L11set_taubetaI19rocblas_complex_numIdEidPKPS3_EEvPT_lS8_T2_llPT1_ll.numbered_sgpr, 22
	.set _ZN9rocsolver6v33100L11set_taubetaI19rocblas_complex_numIdEidPKPS3_EEvPT_lS8_T2_llPT1_ll.num_named_barrier, 0
	.set _ZN9rocsolver6v33100L11set_taubetaI19rocblas_complex_numIdEidPKPS3_EEvPT_lS8_T2_llPT1_ll.private_seg_size, 0
	.set _ZN9rocsolver6v33100L11set_taubetaI19rocblas_complex_numIdEidPKPS3_EEvPT_lS8_T2_llPT1_ll.uses_vcc, 1
	.set _ZN9rocsolver6v33100L11set_taubetaI19rocblas_complex_numIdEidPKPS3_EEvPT_lS8_T2_llPT1_ll.uses_flat_scratch, 0
	.set _ZN9rocsolver6v33100L11set_taubetaI19rocblas_complex_numIdEidPKPS3_EEvPT_lS8_T2_llPT1_ll.has_dyn_sized_stack, 0
	.set _ZN9rocsolver6v33100L11set_taubetaI19rocblas_complex_numIdEidPKPS3_EEvPT_lS8_T2_llPT1_ll.has_recursion, 0
	.set _ZN9rocsolver6v33100L11set_taubetaI19rocblas_complex_numIdEidPKPS3_EEvPT_lS8_T2_llPT1_ll.has_indirect_call, 0
	.section	.AMDGPU.csdata,"",@progbits
; Kernel info:
; codeLenInByte = 1112
; TotalNumSgprs: 26
; NumVgprs: 24
; ScratchSize: 0
; MemoryBound: 0
; FloatMode: 240
; IeeeMode: 1
; LDSByteSize: 0 bytes/workgroup (compile time only)
; SGPRBlocks: 3
; VGPRBlocks: 5
; NumSGPRsForWavesPerEU: 26
; NumVGPRsForWavesPerEU: 24
; Occupancy: 10
; WaveLimiterHint : 1
; COMPUTE_PGM_RSRC2:SCRATCH_EN: 0
; COMPUTE_PGM_RSRC2:USER_SGPR: 6
; COMPUTE_PGM_RSRC2:TRAP_HANDLER: 0
; COMPUTE_PGM_RSRC2:TGID_X_EN: 1
; COMPUTE_PGM_RSRC2:TGID_Y_EN: 0
; COMPUTE_PGM_RSRC2:TGID_Z_EN: 0
; COMPUTE_PGM_RSRC2:TIDIG_COMP_CNT: 0
	.section	.text._ZN9rocsolver6v33100L8set_diagI19rocblas_complex_numIdEiS3_PKPS3_TnNSt9enable_ifIXoont18rocblas_is_complexIT_E18rocblas_is_complexIT1_EEiE4typeELi0EEEvPS9_llT2_lT0_lSE_b,"axG",@progbits,_ZN9rocsolver6v33100L8set_diagI19rocblas_complex_numIdEiS3_PKPS3_TnNSt9enable_ifIXoont18rocblas_is_complexIT_E18rocblas_is_complexIT1_EEiE4typeELi0EEEvPS9_llT2_lT0_lSE_b,comdat
	.globl	_ZN9rocsolver6v33100L8set_diagI19rocblas_complex_numIdEiS3_PKPS3_TnNSt9enable_ifIXoont18rocblas_is_complexIT_E18rocblas_is_complexIT1_EEiE4typeELi0EEEvPS9_llT2_lT0_lSE_b ; -- Begin function _ZN9rocsolver6v33100L8set_diagI19rocblas_complex_numIdEiS3_PKPS3_TnNSt9enable_ifIXoont18rocblas_is_complexIT_E18rocblas_is_complexIT1_EEiE4typeELi0EEEvPS9_llT2_lT0_lSE_b
	.p2align	8
	.type	_ZN9rocsolver6v33100L8set_diagI19rocblas_complex_numIdEiS3_PKPS3_TnNSt9enable_ifIXoont18rocblas_is_complexIT_E18rocblas_is_complexIT1_EEiE4typeELi0EEEvPS9_llT2_lT0_lSE_b,@function
_ZN9rocsolver6v33100L8set_diagI19rocblas_complex_numIdEiS3_PKPS3_TnNSt9enable_ifIXoont18rocblas_is_complexIT_E18rocblas_is_complexIT1_EEiE4typeELi0EEEvPS9_llT2_lT0_lSE_b: ; @_ZN9rocsolver6v33100L8set_diagI19rocblas_complex_numIdEiS3_PKPS3_TnNSt9enable_ifIXoont18rocblas_is_complexIT_E18rocblas_is_complexIT1_EEiE4typeELi0EEEvPS9_llT2_lT0_lSE_b
; %bb.0:
	s_load_dword s2, s[4:5], 0x4c
	s_load_dwordx2 s[0:1], s[4:5], 0x38
	s_waitcnt lgkmcnt(0)
	s_lshr_b32 s2, s2, 16
	s_mul_i32 s7, s7, s2
	v_add_u32_e32 v0, s7, v1
	v_cmp_gt_i32_e32 vcc, s0, v0
	s_and_saveexec_b64 s[2:3], vcc
	s_cbranch_execz .LBB51_5
; %bb.1:
	s_load_dwordx8 s[8:15], s[4:5], 0x0
	s_load_dwordx2 s[2:3], s[4:5], 0x20
	s_load_dword s16, s[4:5], 0x28
	s_bitcmp1_b32 s1, 0
	s_cselect_b64 s[0:1], -1, 0
	s_ashr_i32 s7, s6, 31
	s_lshl_b64 s[4:5], s[6:7], 3
	s_waitcnt lgkmcnt(0)
	s_add_u32 s4, s14, s4
	s_addc_u32 s5, s15, s5
	s_load_dwordx2 s[4:5], s[4:5], 0x0
	v_mad_u64_u32 v[1:2], s[14:15], v0, s16, v[0:1]
	s_lshl_b64 s[2:3], s[2:3], 4
	v_ashrrev_i32_e32 v2, 31, v1
	s_waitcnt lgkmcnt(0)
	s_add_u32 s2, s4, s2
	v_lshlrev_b64 v[1:2], 4, v[1:2]
	s_addc_u32 s3, s5, s3
	v_mov_b32_e32 v3, s3
	v_add_co_u32_e32 v4, vcc, s2, v1
	v_addc_co_u32_e32 v5, vcc, v3, v2, vcc
	flat_load_dwordx4 v[6:9], v[4:5]
	s_mul_hi_u32 s3, s12, s6
	s_mul_i32 s4, s12, s7
	s_mul_i32 s5, s13, s6
	s_add_i32 s3, s3, s4
	s_mul_i32 s2, s12, s6
	s_add_i32 s3, s3, s5
	s_lshl_b64 s[2:3], s[2:3], 4
	s_add_u32 s4, s8, s2
	v_ashrrev_i32_e32 v1, 31, v0
	s_addc_u32 s5, s9, s3
	s_lshl_b64 s[2:3], s[10:11], 4
	v_lshlrev_b64 v[0:1], 4, v[0:1]
	s_add_u32 s2, s4, s2
	s_addc_u32 s3, s5, s3
	s_and_b64 vcc, exec, s[0:1]
	v_mov_b32_e32 v2, s3
	v_add_co_u32_e64 v0, s[0:1], s2, v0
	v_addc_co_u32_e64 v1, s[0:1], v2, v1, s[0:1]
	s_waitcnt vmcnt(0) lgkmcnt(0)
	global_store_dwordx4 v[0:1], v[6:9], off
	s_cbranch_vccnz .LBB51_3
; %bb.2:
	flat_load_dwordx4 v[0:3], v[4:5]
	s_branch .LBB51_4
.LBB51_3:
	v_mov_b32_e32 v0, 0
	v_mov_b32_e32 v2, 0
	;; [unrolled: 1-line block ×4, first 2 shown]
.LBB51_4:
	s_waitcnt vmcnt(0) lgkmcnt(0)
	flat_store_dwordx4 v[4:5], v[0:3]
.LBB51_5:
	s_endpgm
	.section	.rodata,"a",@progbits
	.p2align	6, 0x0
	.amdhsa_kernel _ZN9rocsolver6v33100L8set_diagI19rocblas_complex_numIdEiS3_PKPS3_TnNSt9enable_ifIXoont18rocblas_is_complexIT_E18rocblas_is_complexIT1_EEiE4typeELi0EEEvPS9_llT2_lT0_lSE_b
		.amdhsa_group_segment_fixed_size 0
		.amdhsa_private_segment_fixed_size 0
		.amdhsa_kernarg_size 320
		.amdhsa_user_sgpr_count 6
		.amdhsa_user_sgpr_private_segment_buffer 1
		.amdhsa_user_sgpr_dispatch_ptr 0
		.amdhsa_user_sgpr_queue_ptr 0
		.amdhsa_user_sgpr_kernarg_segment_ptr 1
		.amdhsa_user_sgpr_dispatch_id 0
		.amdhsa_user_sgpr_flat_scratch_init 0
		.amdhsa_user_sgpr_private_segment_size 0
		.amdhsa_uses_dynamic_stack 0
		.amdhsa_system_sgpr_private_segment_wavefront_offset 0
		.amdhsa_system_sgpr_workgroup_id_x 1
		.amdhsa_system_sgpr_workgroup_id_y 1
		.amdhsa_system_sgpr_workgroup_id_z 0
		.amdhsa_system_sgpr_workgroup_info 0
		.amdhsa_system_vgpr_workitem_id 1
		.amdhsa_next_free_vgpr 10
		.amdhsa_next_free_sgpr 17
		.amdhsa_reserve_vcc 1
		.amdhsa_reserve_flat_scratch 0
		.amdhsa_float_round_mode_32 0
		.amdhsa_float_round_mode_16_64 0
		.amdhsa_float_denorm_mode_32 3
		.amdhsa_float_denorm_mode_16_64 3
		.amdhsa_dx10_clamp 1
		.amdhsa_ieee_mode 1
		.amdhsa_fp16_overflow 0
		.amdhsa_exception_fp_ieee_invalid_op 0
		.amdhsa_exception_fp_denorm_src 0
		.amdhsa_exception_fp_ieee_div_zero 0
		.amdhsa_exception_fp_ieee_overflow 0
		.amdhsa_exception_fp_ieee_underflow 0
		.amdhsa_exception_fp_ieee_inexact 0
		.amdhsa_exception_int_div_zero 0
	.end_amdhsa_kernel
	.section	.text._ZN9rocsolver6v33100L8set_diagI19rocblas_complex_numIdEiS3_PKPS3_TnNSt9enable_ifIXoont18rocblas_is_complexIT_E18rocblas_is_complexIT1_EEiE4typeELi0EEEvPS9_llT2_lT0_lSE_b,"axG",@progbits,_ZN9rocsolver6v33100L8set_diagI19rocblas_complex_numIdEiS3_PKPS3_TnNSt9enable_ifIXoont18rocblas_is_complexIT_E18rocblas_is_complexIT1_EEiE4typeELi0EEEvPS9_llT2_lT0_lSE_b,comdat
.Lfunc_end51:
	.size	_ZN9rocsolver6v33100L8set_diagI19rocblas_complex_numIdEiS3_PKPS3_TnNSt9enable_ifIXoont18rocblas_is_complexIT_E18rocblas_is_complexIT1_EEiE4typeELi0EEEvPS9_llT2_lT0_lSE_b, .Lfunc_end51-_ZN9rocsolver6v33100L8set_diagI19rocblas_complex_numIdEiS3_PKPS3_TnNSt9enable_ifIXoont18rocblas_is_complexIT_E18rocblas_is_complexIT1_EEiE4typeELi0EEEvPS9_llT2_lT0_lSE_b
                                        ; -- End function
	.set _ZN9rocsolver6v33100L8set_diagI19rocblas_complex_numIdEiS3_PKPS3_TnNSt9enable_ifIXoont18rocblas_is_complexIT_E18rocblas_is_complexIT1_EEiE4typeELi0EEEvPS9_llT2_lT0_lSE_b.num_vgpr, 10
	.set _ZN9rocsolver6v33100L8set_diagI19rocblas_complex_numIdEiS3_PKPS3_TnNSt9enable_ifIXoont18rocblas_is_complexIT_E18rocblas_is_complexIT1_EEiE4typeELi0EEEvPS9_llT2_lT0_lSE_b.num_agpr, 0
	.set _ZN9rocsolver6v33100L8set_diagI19rocblas_complex_numIdEiS3_PKPS3_TnNSt9enable_ifIXoont18rocblas_is_complexIT_E18rocblas_is_complexIT1_EEiE4typeELi0EEEvPS9_llT2_lT0_lSE_b.numbered_sgpr, 17
	.set _ZN9rocsolver6v33100L8set_diagI19rocblas_complex_numIdEiS3_PKPS3_TnNSt9enable_ifIXoont18rocblas_is_complexIT_E18rocblas_is_complexIT1_EEiE4typeELi0EEEvPS9_llT2_lT0_lSE_b.num_named_barrier, 0
	.set _ZN9rocsolver6v33100L8set_diagI19rocblas_complex_numIdEiS3_PKPS3_TnNSt9enable_ifIXoont18rocblas_is_complexIT_E18rocblas_is_complexIT1_EEiE4typeELi0EEEvPS9_llT2_lT0_lSE_b.private_seg_size, 0
	.set _ZN9rocsolver6v33100L8set_diagI19rocblas_complex_numIdEiS3_PKPS3_TnNSt9enable_ifIXoont18rocblas_is_complexIT_E18rocblas_is_complexIT1_EEiE4typeELi0EEEvPS9_llT2_lT0_lSE_b.uses_vcc, 1
	.set _ZN9rocsolver6v33100L8set_diagI19rocblas_complex_numIdEiS3_PKPS3_TnNSt9enable_ifIXoont18rocblas_is_complexIT_E18rocblas_is_complexIT1_EEiE4typeELi0EEEvPS9_llT2_lT0_lSE_b.uses_flat_scratch, 0
	.set _ZN9rocsolver6v33100L8set_diagI19rocblas_complex_numIdEiS3_PKPS3_TnNSt9enable_ifIXoont18rocblas_is_complexIT_E18rocblas_is_complexIT1_EEiE4typeELi0EEEvPS9_llT2_lT0_lSE_b.has_dyn_sized_stack, 0
	.set _ZN9rocsolver6v33100L8set_diagI19rocblas_complex_numIdEiS3_PKPS3_TnNSt9enable_ifIXoont18rocblas_is_complexIT_E18rocblas_is_complexIT1_EEiE4typeELi0EEEvPS9_llT2_lT0_lSE_b.has_recursion, 0
	.set _ZN9rocsolver6v33100L8set_diagI19rocblas_complex_numIdEiS3_PKPS3_TnNSt9enable_ifIXoont18rocblas_is_complexIT_E18rocblas_is_complexIT1_EEiE4typeELi0EEEvPS9_llT2_lT0_lSE_b.has_indirect_call, 0
	.section	.AMDGPU.csdata,"",@progbits
; Kernel info:
; codeLenInByte = 308
; TotalNumSgprs: 21
; NumVgprs: 10
; ScratchSize: 0
; MemoryBound: 1
; FloatMode: 240
; IeeeMode: 1
; LDSByteSize: 0 bytes/workgroup (compile time only)
; SGPRBlocks: 2
; VGPRBlocks: 2
; NumSGPRsForWavesPerEU: 21
; NumVGPRsForWavesPerEU: 10
; Occupancy: 10
; WaveLimiterHint : 1
; COMPUTE_PGM_RSRC2:SCRATCH_EN: 0
; COMPUTE_PGM_RSRC2:USER_SGPR: 6
; COMPUTE_PGM_RSRC2:TRAP_HANDLER: 0
; COMPUTE_PGM_RSRC2:TGID_X_EN: 1
; COMPUTE_PGM_RSRC2:TGID_Y_EN: 1
; COMPUTE_PGM_RSRC2:TGID_Z_EN: 0
; COMPUTE_PGM_RSRC2:TIDIG_COMP_CNT: 1
	.section	.text._ZN9rocsolver6v33100L16larf_left_kernelILi1024E19rocblas_complex_numIdEiPKPS3_EEvT1_S7_T2_lS7_lPKT0_lS8_lS7_l,"axG",@progbits,_ZN9rocsolver6v33100L16larf_left_kernelILi1024E19rocblas_complex_numIdEiPKPS3_EEvT1_S7_T2_lS7_lPKT0_lS8_lS7_l,comdat
	.globl	_ZN9rocsolver6v33100L16larf_left_kernelILi1024E19rocblas_complex_numIdEiPKPS3_EEvT1_S7_T2_lS7_lPKT0_lS8_lS7_l ; -- Begin function _ZN9rocsolver6v33100L16larf_left_kernelILi1024E19rocblas_complex_numIdEiPKPS3_EEvT1_S7_T2_lS7_lPKT0_lS8_lS7_l
	.p2align	8
	.type	_ZN9rocsolver6v33100L16larf_left_kernelILi1024E19rocblas_complex_numIdEiPKPS3_EEvT1_S7_T2_lS7_lPKT0_lS8_lS7_l,@function
_ZN9rocsolver6v33100L16larf_left_kernelILi1024E19rocblas_complex_numIdEiPKPS3_EEvT1_S7_T2_lS7_lPKT0_lS8_lS7_l: ; @_ZN9rocsolver6v33100L16larf_left_kernelILi1024E19rocblas_complex_numIdEiPKPS3_EEvT1_S7_T2_lS7_lPKT0_lS8_lS7_l
; %bb.0:
	s_load_dwordx8 s[12:19], s[4:5], 0x28
	s_load_dword s20, s[4:5], 0x0
	s_load_dword s6, s[4:5], 0x48
	s_ashr_i32 s9, s8, 31
	s_lshl_b64 s[2:3], s[8:9], 3
	s_waitcnt lgkmcnt(0)
	s_add_u32 s0, s16, s2
	s_addc_u32 s1, s17, s3
	s_load_dwordx2 s[10:11], s[0:1], 0x0
	v_mov_b32_e32 v1, 0
	v_mov_b32_e32 v3, 0
	v_cmp_gt_i32_e64 s[0:1], s20, v0
	v_mov_b32_e32 v2, 0
	s_mul_hi_i32 s17, s7, s6
	v_mov_b32_e32 v4, 0
	s_mul_i32 s16, s7, s6
	s_and_saveexec_b64 s[6:7], s[0:1]
	s_cbranch_execz .LBB52_6
; %bb.1:
	s_load_dword s22, s[4:5], 0x18
	s_load_dwordx4 s[24:27], s[4:5], 0x8
	s_sub_i32 s4, 1, s20
	v_lshl_add_u32 v3, v0, 4, 0
	v_add_u32_e32 v7, 0x100, v3
	s_waitcnt lgkmcnt(0)
	s_ashr_i32 s23, s22, 31
	s_mul_i32 s21, s22, s4
	v_cmp_lt_i64_e64 s[4:5], s[22:23], 1
	v_mad_i64_i32 v[1:2], s[28:29], s22, v0, 0
	s_and_b64 s[4:5], s[4:5], exec
	s_cselect_b32 s4, s21, 0
	s_ashr_i32 s5, s4, 31
	s_add_u32 s2, s24, s2
	s_addc_u32 s3, s25, s3
	s_load_dwordx2 s[2:3], s[2:3], 0x0
	s_lshl_b64 s[24:25], s[26:27], 4
	s_lshl_b64 s[4:5], s[4:5], 4
	v_lshlrev_b64 v[1:2], 4, v[1:2]
	v_mov_b32_e32 v4, v7
	s_waitcnt lgkmcnt(0)
	s_add_u32 s2, s2, s4
	s_addc_u32 s3, s3, s5
	s_add_u32 s2, s2, s24
	s_addc_u32 s3, s3, s25
	v_mov_b32_e32 v3, s3
	v_add_co_u32_e32 v1, vcc, s2, v1
	s_lshl_b64 s[4:5], s[22:23], 14
	v_addc_co_u32_e32 v2, vcc, v3, v2, vcc
	s_mov_b64 s[2:3], 0
	v_mov_b32_e32 v3, s5
	v_mov_b32_e32 v5, v0
.LBB52_2:                               ; =>This Inner Loop Header: Depth=1
	flat_load_dwordx4 v[8:11], v[1:2]
	v_add_co_u32_e32 v1, vcc, s4, v1
	v_add_u32_e32 v5, 0x400, v5
	v_addc_co_u32_e32 v2, vcc, v2, v3, vcc
	v_cmp_le_i32_e32 vcc, s20, v5
	s_or_b64 s[2:3], vcc, s[2:3]
	s_waitcnt vmcnt(0) lgkmcnt(0)
	ds_write2_b64 v4, v[8:9], v[10:11] offset1:1
	v_add_u32_e32 v4, 0x4000, v4
	s_andn2_b64 exec, exec, s[2:3]
	s_cbranch_execnz .LBB52_2
; %bb.3:
	s_or_b64 exec, exec, s[2:3]
	s_lshl_b64 s[2:3], s[16:17], 4
	s_lshl_b64 s[4:5], s[18:19], 4
	s_add_u32 s2, s2, s4
	s_addc_u32 s3, s3, s5
	s_add_u32 s2, s10, s2
	v_lshlrev_b32_e32 v1, 4, v0
	s_addc_u32 s3, s11, s3
	v_mov_b32_e32 v2, s3
	v_add_co_u32_e32 v5, vcc, s2, v1
	v_addc_co_u32_e32 v6, vcc, 0, v2, vcc
	v_mov_b32_e32 v1, 0
	v_mov_b32_e32 v3, 0
	;; [unrolled: 1-line block ×3, first 2 shown]
	s_mov_b64 s[4:5], 0
	v_mov_b32_e32 v4, 0
	v_mov_b32_e32 v8, v0
.LBB52_4:                               ; =>This Inner Loop Header: Depth=1
	flat_load_dwordx4 v[9:12], v[5:6]
	ds_read2_b64 v[13:16], v7 offset1:1
	v_add_u32_e32 v8, 0x400, v8
	v_add_co_u32_e32 v5, vcc, 0x4000, v5
	v_cmp_le_i32_e64 s[2:3], s20, v8
	v_add_u32_e32 v7, 0x4000, v7
	s_or_b64 s[4:5], s[2:3], s[4:5]
	v_addc_co_u32_e32 v6, vcc, 0, v6, vcc
	s_waitcnt vmcnt(0) lgkmcnt(0)
	v_mul_f64 v[17:18], v[11:12], v[15:16]
	v_mul_f64 v[11:12], v[11:12], v[13:14]
	v_fma_f64 v[13:14], v[9:10], v[13:14], v[17:18]
	v_fma_f64 v[9:10], v[9:10], v[15:16], -v[11:12]
	v_add_f64 v[3:4], v[3:4], v[13:14]
	v_add_f64 v[1:2], v[1:2], v[9:10]
	s_andn2_b64 exec, exec, s[4:5]
	s_cbranch_execnz .LBB52_4
; %bb.5:
	s_or_b64 exec, exec, s[4:5]
.LBB52_6:
	s_or_b64 exec, exec, s[6:7]
	v_mbcnt_lo_u32_b32 v5, -1, 0
	v_mbcnt_hi_u32_b32 v9, -1, v5
	v_and_b32_e32 v10, 63, v9
	v_cmp_ne_u32_e32 vcc, 63, v10
	v_addc_co_u32_e32 v5, vcc, 0, v9, vcc
	v_lshlrev_b32_e32 v8, 2, v5
	ds_bpermute_b32 v5, v8, v3
	ds_bpermute_b32 v6, v8, v4
	;; [unrolled: 1-line block ×4, first 2 shown]
	v_cmp_gt_u32_e32 vcc, 62, v10
	s_waitcnt lgkmcnt(0)
	v_add_f64 v[3:4], v[3:4], v[5:6]
	v_cndmask_b32_e64 v5, 0, 2, vcc
	v_add_f64 v[1:2], v[1:2], v[7:8]
	v_add_lshl_u32 v8, v5, v9, 2
	v_cmp_gt_u32_e32 vcc, 60, v10
	ds_bpermute_b32 v5, v8, v3
	ds_bpermute_b32 v6, v8, v4
	ds_bpermute_b32 v7, v8, v1
	ds_bpermute_b32 v8, v8, v2
	s_waitcnt lgkmcnt(2)
	v_add_f64 v[3:4], v[3:4], v[5:6]
	v_cndmask_b32_e64 v5, 0, 4, vcc
	s_waitcnt lgkmcnt(0)
	v_add_f64 v[1:2], v[1:2], v[7:8]
	v_add_lshl_u32 v8, v5, v9, 2
	v_cmp_gt_u32_e32 vcc, 56, v10
	ds_bpermute_b32 v5, v8, v3
	ds_bpermute_b32 v6, v8, v4
	ds_bpermute_b32 v7, v8, v1
	ds_bpermute_b32 v8, v8, v2
	s_waitcnt lgkmcnt(2)
	v_add_f64 v[3:4], v[3:4], v[5:6]
	v_cndmask_b32_e64 v5, 0, 8, vcc
	s_waitcnt lgkmcnt(0)
	;; [unrolled: 11-line block ×3, first 2 shown]
	v_add_f64 v[1:2], v[1:2], v[7:8]
	v_add_lshl_u32 v8, v5, v9, 2
	ds_bpermute_b32 v5, v8, v3
	ds_bpermute_b32 v6, v8, v4
	;; [unrolled: 1-line block ×4, first 2 shown]
	s_waitcnt lgkmcnt(2)
	v_add_f64 v[3:4], v[3:4], v[5:6]
	s_waitcnt lgkmcnt(0)
	v_add_f64 v[5:6], v[1:2], v[7:8]
	v_mov_b32_e32 v1, 0x80
	v_lshl_or_b32 v8, v9, 2, v1
	ds_bpermute_b32 v1, v8, v3
	ds_bpermute_b32 v2, v8, v4
	;; [unrolled: 1-line block ×4, first 2 shown]
	s_waitcnt lgkmcnt(2)
	v_add_f64 v[1:2], v[3:4], v[1:2]
	s_waitcnt lgkmcnt(0)
	v_add_f64 v[3:4], v[5:6], v[7:8]
	v_and_b32_e32 v5, 63, v0
	v_cmp_eq_u32_e32 vcc, 0, v5
	s_and_saveexec_b64 s[2:3], vcc
; %bb.7:
	v_lshrrev_b32_e32 v5, 2, v0
	v_add_u32_e32 v5, 0, v5
	ds_write2_b64 v5, v[1:2], v[3:4] offset1:1
; %bb.8:
	s_or_b64 exec, exec, s[2:3]
	v_cmp_eq_u32_e32 vcc, 0, v0
	s_waitcnt lgkmcnt(0)
	s_barrier
	s_and_saveexec_b64 s[2:3], vcc
	s_cbranch_execz .LBB52_10
; %bb.9:
	v_mov_b32_e32 v13, 0
	ds_read2_b64 v[5:8], v13 offset0:2 offset1:3
	ds_read2_b64 v[9:12], v13 offset0:4 offset1:5
	s_waitcnt lgkmcnt(1)
	v_add_f64 v[1:2], v[1:2], v[5:6]
	v_add_f64 v[3:4], v[3:4], v[7:8]
	s_waitcnt lgkmcnt(0)
	v_add_f64 v[9:10], v[1:2], v[9:10]
	v_add_f64 v[11:12], v[3:4], v[11:12]
	ds_read2_b64 v[1:4], v13 offset0:6 offset1:7
	ds_read2_b64 v[5:8], v13 offset0:8 offset1:9
	s_waitcnt lgkmcnt(1)
	v_add_f64 v[1:2], v[9:10], v[1:2]
	v_add_f64 v[3:4], v[11:12], v[3:4]
	s_waitcnt lgkmcnt(0)
	v_add_f64 v[9:10], v[1:2], v[5:6]
	v_add_f64 v[11:12], v[3:4], v[7:8]
	;; [unrolled: 8-line block ×7, first 2 shown]
	ds_read2_b64 v[1:4], v13 offset0:30 offset1:31
	s_waitcnt lgkmcnt(0)
	v_add_f64 v[1:2], v[5:6], v[1:2]
	v_add_f64 v[3:4], v[7:8], v[3:4]
	ds_write2_b64 v13, v[1:2], v[3:4] offset1:1
.LBB52_10:
	s_or_b64 exec, exec, s[2:3]
	s_waitcnt lgkmcnt(0)
	s_barrier
	s_and_saveexec_b64 s[2:3], s[0:1]
	s_cbranch_execz .LBB52_13
; %bb.11:
	s_mul_i32 s0, s14, s9
	s_mul_hi_u32 s1, s14, s8
	s_add_i32 s0, s1, s0
	s_mul_i32 s1, s15, s8
	s_add_i32 s1, s0, s1
	s_mul_i32 s0, s14, s8
	s_lshl_b64 s[0:1], s[0:1], 4
	s_add_u32 s4, s12, s0
	s_addc_u32 s5, s13, s1
	v_mov_b32_e32 v1, 0
	s_load_dwordx4 s[0:3], s[4:5], 0x0
	ds_read2_b64 v[1:4], v1 offset1:1
	v_lshlrev_b32_e32 v10, 4, v0
	v_add_u32_e32 v7, 0, v10
	v_add_u32_e32 v7, 0x100, v7
	s_waitcnt lgkmcnt(0)
	v_mul_f64 v[5:6], s[2:3], v[3:4]
	v_mul_f64 v[8:9], s[2:3], v[1:2]
	s_lshl_b64 s[2:3], s[16:17], 4
	v_fma_f64 v[1:2], v[1:2], -s[0:1], -v[5:6]
	v_fma_f64 v[3:4], s[0:1], v[3:4], -v[8:9]
	s_lshl_b64 s[0:1], s[18:19], 4
	s_add_u32 s0, s2, s0
	s_addc_u32 s1, s3, s1
	s_add_u32 s0, s10, s0
	s_addc_u32 s1, s11, s1
	v_mov_b32_e32 v6, s1
	v_add_co_u32_e32 v5, vcc, s0, v10
	v_addc_co_u32_e32 v6, vcc, 0, v6, vcc
	s_mov_b64 s[0:1], 0
.LBB52_12:                              ; =>This Inner Loop Header: Depth=1
	flat_load_dwordx4 v[8:11], v[5:6]
	ds_read2_b64 v[12:15], v7 offset1:1
	v_add_u32_e32 v0, 0x400, v0
	v_cmp_le_i32_e32 vcc, s20, v0
	s_or_b64 s[0:1], vcc, s[0:1]
	v_add_u32_e32 v7, 0x4000, v7
	s_waitcnt lgkmcnt(0)
	v_mul_f64 v[16:17], v[3:4], v[14:15]
	v_mul_f64 v[14:15], v[1:2], v[14:15]
	v_fma_f64 v[16:17], v[1:2], v[12:13], -v[16:17]
	v_fma_f64 v[12:13], v[3:4], v[12:13], v[14:15]
	s_waitcnt vmcnt(0)
	v_add_f64 v[8:9], v[8:9], v[16:17]
	v_add_f64 v[10:11], v[12:13], v[10:11]
	flat_store_dwordx4 v[5:6], v[8:11]
	v_add_co_u32_e32 v5, vcc, 0x4000, v5
	v_addc_co_u32_e32 v6, vcc, 0, v6, vcc
	s_andn2_b64 exec, exec, s[0:1]
	s_cbranch_execnz .LBB52_12
.LBB52_13:
	s_endpgm
	.section	.rodata,"a",@progbits
	.p2align	6, 0x0
	.amdhsa_kernel _ZN9rocsolver6v33100L16larf_left_kernelILi1024E19rocblas_complex_numIdEiPKPS3_EEvT1_S7_T2_lS7_lPKT0_lS8_lS7_l
		.amdhsa_group_segment_fixed_size 0
		.amdhsa_private_segment_fixed_size 0
		.amdhsa_kernarg_size 88
		.amdhsa_user_sgpr_count 6
		.amdhsa_user_sgpr_private_segment_buffer 1
		.amdhsa_user_sgpr_dispatch_ptr 0
		.amdhsa_user_sgpr_queue_ptr 0
		.amdhsa_user_sgpr_kernarg_segment_ptr 1
		.amdhsa_user_sgpr_dispatch_id 0
		.amdhsa_user_sgpr_flat_scratch_init 0
		.amdhsa_user_sgpr_private_segment_size 0
		.amdhsa_uses_dynamic_stack 0
		.amdhsa_system_sgpr_private_segment_wavefront_offset 0
		.amdhsa_system_sgpr_workgroup_id_x 1
		.amdhsa_system_sgpr_workgroup_id_y 1
		.amdhsa_system_sgpr_workgroup_id_z 1
		.amdhsa_system_sgpr_workgroup_info 0
		.amdhsa_system_vgpr_workitem_id 0
		.amdhsa_next_free_vgpr 19
		.amdhsa_next_free_sgpr 30
		.amdhsa_reserve_vcc 1
		.amdhsa_reserve_flat_scratch 0
		.amdhsa_float_round_mode_32 0
		.amdhsa_float_round_mode_16_64 0
		.amdhsa_float_denorm_mode_32 3
		.amdhsa_float_denorm_mode_16_64 3
		.amdhsa_dx10_clamp 1
		.amdhsa_ieee_mode 1
		.amdhsa_fp16_overflow 0
		.amdhsa_exception_fp_ieee_invalid_op 0
		.amdhsa_exception_fp_denorm_src 0
		.amdhsa_exception_fp_ieee_div_zero 0
		.amdhsa_exception_fp_ieee_overflow 0
		.amdhsa_exception_fp_ieee_underflow 0
		.amdhsa_exception_fp_ieee_inexact 0
		.amdhsa_exception_int_div_zero 0
	.end_amdhsa_kernel
	.section	.text._ZN9rocsolver6v33100L16larf_left_kernelILi1024E19rocblas_complex_numIdEiPKPS3_EEvT1_S7_T2_lS7_lPKT0_lS8_lS7_l,"axG",@progbits,_ZN9rocsolver6v33100L16larf_left_kernelILi1024E19rocblas_complex_numIdEiPKPS3_EEvT1_S7_T2_lS7_lPKT0_lS8_lS7_l,comdat
.Lfunc_end52:
	.size	_ZN9rocsolver6v33100L16larf_left_kernelILi1024E19rocblas_complex_numIdEiPKPS3_EEvT1_S7_T2_lS7_lPKT0_lS8_lS7_l, .Lfunc_end52-_ZN9rocsolver6v33100L16larf_left_kernelILi1024E19rocblas_complex_numIdEiPKPS3_EEvT1_S7_T2_lS7_lPKT0_lS8_lS7_l
                                        ; -- End function
	.set _ZN9rocsolver6v33100L16larf_left_kernelILi1024E19rocblas_complex_numIdEiPKPS3_EEvT1_S7_T2_lS7_lPKT0_lS8_lS7_l.num_vgpr, 19
	.set _ZN9rocsolver6v33100L16larf_left_kernelILi1024E19rocblas_complex_numIdEiPKPS3_EEvT1_S7_T2_lS7_lPKT0_lS8_lS7_l.num_agpr, 0
	.set _ZN9rocsolver6v33100L16larf_left_kernelILi1024E19rocblas_complex_numIdEiPKPS3_EEvT1_S7_T2_lS7_lPKT0_lS8_lS7_l.numbered_sgpr, 30
	.set _ZN9rocsolver6v33100L16larf_left_kernelILi1024E19rocblas_complex_numIdEiPKPS3_EEvT1_S7_T2_lS7_lPKT0_lS8_lS7_l.num_named_barrier, 0
	.set _ZN9rocsolver6v33100L16larf_left_kernelILi1024E19rocblas_complex_numIdEiPKPS3_EEvT1_S7_T2_lS7_lPKT0_lS8_lS7_l.private_seg_size, 0
	.set _ZN9rocsolver6v33100L16larf_left_kernelILi1024E19rocblas_complex_numIdEiPKPS3_EEvT1_S7_T2_lS7_lPKT0_lS8_lS7_l.uses_vcc, 1
	.set _ZN9rocsolver6v33100L16larf_left_kernelILi1024E19rocblas_complex_numIdEiPKPS3_EEvT1_S7_T2_lS7_lPKT0_lS8_lS7_l.uses_flat_scratch, 0
	.set _ZN9rocsolver6v33100L16larf_left_kernelILi1024E19rocblas_complex_numIdEiPKPS3_EEvT1_S7_T2_lS7_lPKT0_lS8_lS7_l.has_dyn_sized_stack, 0
	.set _ZN9rocsolver6v33100L16larf_left_kernelILi1024E19rocblas_complex_numIdEiPKPS3_EEvT1_S7_T2_lS7_lPKT0_lS8_lS7_l.has_recursion, 0
	.set _ZN9rocsolver6v33100L16larf_left_kernelILi1024E19rocblas_complex_numIdEiPKPS3_EEvT1_S7_T2_lS7_lPKT0_lS8_lS7_l.has_indirect_call, 0
	.section	.AMDGPU.csdata,"",@progbits
; Kernel info:
; codeLenInByte = 1744
; TotalNumSgprs: 34
; NumVgprs: 19
; ScratchSize: 0
; MemoryBound: 0
; FloatMode: 240
; IeeeMode: 1
; LDSByteSize: 0 bytes/workgroup (compile time only)
; SGPRBlocks: 4
; VGPRBlocks: 4
; NumSGPRsForWavesPerEU: 34
; NumVGPRsForWavesPerEU: 19
; Occupancy: 10
; WaveLimiterHint : 0
; COMPUTE_PGM_RSRC2:SCRATCH_EN: 0
; COMPUTE_PGM_RSRC2:USER_SGPR: 6
; COMPUTE_PGM_RSRC2:TRAP_HANDLER: 0
; COMPUTE_PGM_RSRC2:TGID_X_EN: 1
; COMPUTE_PGM_RSRC2:TGID_Y_EN: 1
; COMPUTE_PGM_RSRC2:TGID_Z_EN: 1
; COMPUTE_PGM_RSRC2:TIDIG_COMP_CNT: 0
	.section	.text._ZN9rocsolver6v33100L17larf_right_kernelILi1024E19rocblas_complex_numIdEiPKPS3_EEvT1_S7_T2_lS7_lPKT0_lS8_lS7_l,"axG",@progbits,_ZN9rocsolver6v33100L17larf_right_kernelILi1024E19rocblas_complex_numIdEiPKPS3_EEvT1_S7_T2_lS7_lPKT0_lS8_lS7_l,comdat
	.globl	_ZN9rocsolver6v33100L17larf_right_kernelILi1024E19rocblas_complex_numIdEiPKPS3_EEvT1_S7_T2_lS7_lPKT0_lS8_lS7_l ; -- Begin function _ZN9rocsolver6v33100L17larf_right_kernelILi1024E19rocblas_complex_numIdEiPKPS3_EEvT1_S7_T2_lS7_lPKT0_lS8_lS7_l
	.p2align	8
	.type	_ZN9rocsolver6v33100L17larf_right_kernelILi1024E19rocblas_complex_numIdEiPKPS3_EEvT1_S7_T2_lS7_lPKT0_lS8_lS7_l,@function
_ZN9rocsolver6v33100L17larf_right_kernelILi1024E19rocblas_complex_numIdEiPKPS3_EEvT1_S7_T2_lS7_lPKT0_lS8_lS7_l: ; @_ZN9rocsolver6v33100L17larf_right_kernelILi1024E19rocblas_complex_numIdEiPKPS3_EEvT1_S7_T2_lS7_lPKT0_lS8_lS7_l
; %bb.0:
	s_load_dwordx8 s[12:19], s[4:5], 0x28
	s_load_dword s24, s[4:5], 0x4
	s_load_dword s6, s[4:5], 0x48
	s_ashr_i32 s9, s8, 31
	s_lshl_b64 s[0:1], s[8:9], 3
	s_waitcnt lgkmcnt(0)
	s_add_u32 s2, s16, s0
	s_addc_u32 s3, s17, s1
	s_load_dwordx2 s[16:17], s[2:3], 0x0
	v_mov_b32_e32 v1, 0
	v_mov_b32_e32 v3, 0
	s_mov_b32 s10, s7
	s_ashr_i32 s11, s7, 31
	v_cmp_gt_i32_e32 vcc, s24, v0
	v_mov_b32_e32 v2, 0
	v_mov_b32_e32 v4, 0
	v_lshl_add_u32 v7, v0, 4, 0
	s_and_saveexec_b64 s[20:21], vcc
	s_cbranch_execz .LBB53_6
; %bb.1:
	s_load_dword s2, s[4:5], 0x18
	s_load_dwordx4 s[28:31], s[4:5], 0x8
	s_sub_i32 s4, 1, s24
	v_add_u32_e32 v8, 0x100, v7
	v_mov_b32_e32 v4, v8
	s_waitcnt lgkmcnt(0)
	s_ashr_i32 s3, s2, 31
	s_mul_i32 s7, s2, s4
	v_cmp_lt_i64_e64 s[4:5], s[2:3], 1
	v_mad_i64_i32 v[1:2], s[22:23], s2, v0, 0
	s_and_b64 s[4:5], s[4:5], exec
	s_cselect_b32 s4, s7, 0
	s_ashr_i32 s5, s4, 31
	s_add_u32 s0, s28, s0
	s_addc_u32 s1, s29, s1
	s_load_dwordx2 s[0:1], s[0:1], 0x0
	s_lshl_b64 s[22:23], s[30:31], 4
	s_lshl_b64 s[4:5], s[4:5], 4
	v_lshlrev_b64 v[1:2], 4, v[1:2]
	v_mov_b32_e32 v5, v0
	s_waitcnt lgkmcnt(0)
	s_add_u32 s0, s0, s4
	s_addc_u32 s1, s1, s5
	s_add_u32 s0, s0, s22
	s_addc_u32 s1, s1, s23
	v_mov_b32_e32 v3, s1
	v_add_co_u32_e64 v1, s[0:1], s0, v1
	s_lshl_b64 s[4:5], s[2:3], 14
	v_addc_co_u32_e64 v2, s[0:1], v3, v2, s[0:1]
	s_mov_b64 s[2:3], 0
	v_mov_b32_e32 v3, s5
.LBB53_2:                               ; =>This Inner Loop Header: Depth=1
	flat_load_dwordx4 v[9:12], v[1:2]
	v_add_co_u32_e64 v1, s[0:1], s4, v1
	v_add_u32_e32 v5, 0x400, v5
	v_addc_co_u32_e64 v2, s[0:1], v2, v3, s[0:1]
	v_cmp_le_i32_e64 s[0:1], s24, v5
	s_or_b64 s[2:3], s[0:1], s[2:3]
	s_waitcnt vmcnt(0) lgkmcnt(0)
	ds_write2_b64 v4, v[9:10], v[11:12] offset1:1
	v_add_u32_e32 v4, 0x4000, v4
	s_andn2_b64 exec, exec, s[2:3]
	s_cbranch_execnz .LBB53_2
; %bb.3:
	s_or_b64 exec, exec, s[2:3]
	v_mad_i64_i32 v[1:2], s[0:1], s6, v0, 0
	s_ashr_i32 s7, s6, 31
	s_lshl_b64 s[0:1], s[18:19], 4
	s_lshl_b64 s[2:3], s[10:11], 4
	s_add_u32 s2, s16, s2
	s_addc_u32 s3, s17, s3
	v_lshlrev_b64 v[1:2], 4, v[1:2]
	s_add_u32 s0, s2, s0
	s_addc_u32 s1, s3, s1
	v_mov_b32_e32 v3, s1
	v_add_co_u32_e64 v5, s[0:1], s0, v1
	v_addc_co_u32_e64 v6, s[0:1], v3, v2, s[0:1]
	s_lshl_b64 s[4:5], s[6:7], 14
	v_mov_b32_e32 v1, 0
	v_mov_b32_e32 v3, 0
	;; [unrolled: 1-line block ×3, first 2 shown]
	s_mov_b64 s[22:23], 0
	v_mov_b32_e32 v9, s5
	v_mov_b32_e32 v4, 0
	;; [unrolled: 1-line block ×3, first 2 shown]
.LBB53_4:                               ; =>This Inner Loop Header: Depth=1
	flat_load_dwordx4 v[11:14], v[5:6]
	ds_read2_b64 v[15:18], v8 offset1:1
	v_add_u32_e32 v10, 0x400, v10
	v_add_co_u32_e64 v5, s[0:1], s4, v5
	v_cmp_le_i32_e64 s[2:3], s24, v10
	v_add_u32_e32 v8, 0x4000, v8
	s_or_b64 s[22:23], s[2:3], s[22:23]
	v_addc_co_u32_e64 v6, s[0:1], v6, v9, s[0:1]
	s_waitcnt vmcnt(0) lgkmcnt(0)
	v_mul_f64 v[19:20], v[17:18], v[13:14]
	v_mul_f64 v[13:14], v[15:16], v[13:14]
	v_fma_f64 v[19:20], v[15:16], v[11:12], -v[19:20]
	v_fma_f64 v[11:12], v[17:18], v[11:12], v[13:14]
	v_add_f64 v[3:4], v[3:4], v[19:20]
	v_add_f64 v[1:2], v[1:2], v[11:12]
	s_andn2_b64 exec, exec, s[22:23]
	s_cbranch_execnz .LBB53_4
; %bb.5:
	s_or_b64 exec, exec, s[22:23]
.LBB53_6:
	s_or_b64 exec, exec, s[20:21]
	v_mbcnt_lo_u32_b32 v5, -1, 0
	v_mbcnt_hi_u32_b32 v10, -1, v5
	v_and_b32_e32 v11, 63, v10
	v_cmp_ne_u32_e64 s[0:1], 63, v11
	v_addc_co_u32_e64 v5, s[0:1], 0, v10, s[0:1]
	v_lshlrev_b32_e32 v9, 2, v5
	ds_bpermute_b32 v5, v9, v3
	ds_bpermute_b32 v6, v9, v4
	;; [unrolled: 1-line block ×4, first 2 shown]
	v_cmp_gt_u32_e64 s[0:1], 62, v11
	s_waitcnt lgkmcnt(0)
	v_add_f64 v[3:4], v[3:4], v[5:6]
	v_cndmask_b32_e64 v5, 0, 2, s[0:1]
	v_add_f64 v[1:2], v[1:2], v[8:9]
	v_add_lshl_u32 v9, v5, v10, 2
	v_cmp_gt_u32_e64 s[0:1], 60, v11
	ds_bpermute_b32 v5, v9, v3
	ds_bpermute_b32 v6, v9, v4
	ds_bpermute_b32 v8, v9, v1
	ds_bpermute_b32 v9, v9, v2
	s_waitcnt lgkmcnt(2)
	v_add_f64 v[3:4], v[3:4], v[5:6]
	v_cndmask_b32_e64 v5, 0, 4, s[0:1]
	s_waitcnt lgkmcnt(0)
	v_add_f64 v[1:2], v[1:2], v[8:9]
	v_add_lshl_u32 v9, v5, v10, 2
	v_cmp_gt_u32_e64 s[0:1], 56, v11
	ds_bpermute_b32 v5, v9, v3
	ds_bpermute_b32 v6, v9, v4
	ds_bpermute_b32 v8, v9, v1
	ds_bpermute_b32 v9, v9, v2
	s_waitcnt lgkmcnt(2)
	v_add_f64 v[3:4], v[3:4], v[5:6]
	v_cndmask_b32_e64 v5, 0, 8, s[0:1]
	s_waitcnt lgkmcnt(0)
	;; [unrolled: 11-line block ×3, first 2 shown]
	v_add_f64 v[1:2], v[1:2], v[8:9]
	v_add_lshl_u32 v9, v5, v10, 2
	ds_bpermute_b32 v5, v9, v3
	ds_bpermute_b32 v6, v9, v4
	ds_bpermute_b32 v8, v9, v1
	ds_bpermute_b32 v9, v9, v2
	s_waitcnt lgkmcnt(2)
	v_add_f64 v[3:4], v[3:4], v[5:6]
	s_waitcnt lgkmcnt(0)
	v_add_f64 v[5:6], v[1:2], v[8:9]
	v_mov_b32_e32 v1, 0x80
	v_lshl_or_b32 v9, v10, 2, v1
	ds_bpermute_b32 v1, v9, v3
	ds_bpermute_b32 v2, v9, v4
	;; [unrolled: 1-line block ×4, first 2 shown]
	s_waitcnt lgkmcnt(2)
	v_add_f64 v[1:2], v[3:4], v[1:2]
	s_waitcnt lgkmcnt(0)
	v_add_f64 v[3:4], v[5:6], v[8:9]
	v_and_b32_e32 v5, 63, v0
	v_cmp_eq_u32_e64 s[0:1], 0, v5
	s_and_saveexec_b64 s[2:3], s[0:1]
; %bb.7:
	v_lshrrev_b32_e32 v5, 2, v0
	v_add_u32_e32 v5, 0, v5
	ds_write2_b64 v5, v[1:2], v[3:4] offset1:1
; %bb.8:
	s_or_b64 exec, exec, s[2:3]
	v_cmp_eq_u32_e64 s[0:1], 0, v0
	s_waitcnt lgkmcnt(0)
	s_barrier
	s_and_saveexec_b64 s[2:3], s[0:1]
	s_cbranch_execz .LBB53_10
; %bb.9:
	v_mov_b32_e32 v16, 0
	ds_read2_b64 v[8:11], v16 offset0:2 offset1:3
	ds_read2_b64 v[12:15], v16 offset0:4 offset1:5
	s_waitcnt lgkmcnt(1)
	v_add_f64 v[1:2], v[1:2], v[8:9]
	v_add_f64 v[3:4], v[3:4], v[10:11]
	s_waitcnt lgkmcnt(0)
	v_add_f64 v[5:6], v[1:2], v[12:13]
	v_add_f64 v[12:13], v[3:4], v[14:15]
	ds_read2_b64 v[1:4], v16 offset0:6 offset1:7
	ds_read2_b64 v[8:11], v16 offset0:8 offset1:9
	s_waitcnt lgkmcnt(1)
	v_add_f64 v[1:2], v[5:6], v[1:2]
	v_add_f64 v[3:4], v[12:13], v[3:4]
	s_waitcnt lgkmcnt(0)
	v_add_f64 v[5:6], v[1:2], v[8:9]
	v_add_f64 v[12:13], v[3:4], v[10:11]
	;; [unrolled: 8-line block ×7, first 2 shown]
	ds_read2_b64 v[1:4], v16 offset0:30 offset1:31
	s_waitcnt lgkmcnt(0)
	v_add_f64 v[1:2], v[5:6], v[1:2]
	v_add_f64 v[3:4], v[8:9], v[3:4]
	ds_write2_b64 v16, v[1:2], v[3:4] offset1:1
.LBB53_10:
	s_or_b64 exec, exec, s[2:3]
	s_waitcnt lgkmcnt(0)
	s_barrier
	s_and_saveexec_b64 s[0:1], vcc
	s_cbranch_execz .LBB53_13
; %bb.11:
	s_mul_i32 s0, s14, s9
	s_mul_hi_u32 s1, s14, s8
	s_add_i32 s0, s1, s0
	s_mul_i32 s1, s15, s8
	s_add_i32 s1, s0, s1
	s_mul_i32 s0, s14, s8
	s_lshl_b64 s[0:1], s[0:1], 4
	s_add_u32 s4, s12, s0
	s_addc_u32 s5, s13, s1
	v_mov_b32_e32 v1, 0
	s_load_dwordx4 s[0:3], s[4:5], 0x0
	ds_read2_b64 v[3:6], v1 offset1:1
	s_ashr_i32 s7, s6, 31
	v_add_u32_e32 v7, 0x100, v7
	s_waitcnt lgkmcnt(0)
	v_mul_f64 v[1:2], s[0:1], v[3:4]
	v_mul_f64 v[8:9], s[0:1], v[5:6]
	v_mad_i64_i32 v[10:11], s[0:1], s6, v0, 0
	s_lshl_b64 s[0:1], s[18:19], 4
	v_fma_f64 v[1:2], s[2:3], v[5:6], -v[1:2]
	v_fma_f64 v[3:4], v[3:4], -s[2:3], -v[8:9]
	s_lshl_b64 s[2:3], s[10:11], 4
	s_add_u32 s2, s16, s2
	s_addc_u32 s3, s17, s3
	v_lshlrev_b64 v[5:6], 4, v[10:11]
	s_add_u32 s0, s2, s0
	s_addc_u32 s1, s3, s1
	v_mov_b32_e32 v8, s1
	v_add_co_u32_e32 v5, vcc, s0, v5
	s_lshl_b64 s[0:1], s[6:7], 14
	v_addc_co_u32_e32 v6, vcc, v8, v6, vcc
	s_mov_b64 s[2:3], 0
	v_mov_b32_e32 v8, s1
.LBB53_12:                              ; =>This Inner Loop Header: Depth=1
	ds_read2_b64 v[9:12], v7 offset1:1
	v_add_u32_e32 v0, 0x400, v0
	v_cmp_le_i32_e32 vcc, s24, v0
	s_or_b64 s[2:3], vcc, s[2:3]
	v_add_u32_e32 v7, 0x4000, v7
	s_waitcnt lgkmcnt(0)
	v_mul_f64 v[13:14], v[3:4], v[11:12]
	v_mul_f64 v[11:12], v[1:2], v[11:12]
	v_fma_f64 v[13:14], v[1:2], v[9:10], v[13:14]
	v_fma_f64 v[15:16], v[3:4], v[9:10], -v[11:12]
	flat_load_dwordx4 v[9:12], v[5:6]
	s_waitcnt vmcnt(0) lgkmcnt(0)
	v_add_f64 v[9:10], v[9:10], v[13:14]
	v_add_f64 v[11:12], v[15:16], v[11:12]
	flat_store_dwordx4 v[5:6], v[9:12]
	v_add_co_u32_e32 v5, vcc, s0, v5
	v_addc_co_u32_e32 v6, vcc, v6, v8, vcc
	s_andn2_b64 exec, exec, s[2:3]
	s_cbranch_execnz .LBB53_12
.LBB53_13:
	s_endpgm
	.section	.rodata,"a",@progbits
	.p2align	6, 0x0
	.amdhsa_kernel _ZN9rocsolver6v33100L17larf_right_kernelILi1024E19rocblas_complex_numIdEiPKPS3_EEvT1_S7_T2_lS7_lPKT0_lS8_lS7_l
		.amdhsa_group_segment_fixed_size 0
		.amdhsa_private_segment_fixed_size 0
		.amdhsa_kernarg_size 88
		.amdhsa_user_sgpr_count 6
		.amdhsa_user_sgpr_private_segment_buffer 1
		.amdhsa_user_sgpr_dispatch_ptr 0
		.amdhsa_user_sgpr_queue_ptr 0
		.amdhsa_user_sgpr_kernarg_segment_ptr 1
		.amdhsa_user_sgpr_dispatch_id 0
		.amdhsa_user_sgpr_flat_scratch_init 0
		.amdhsa_user_sgpr_private_segment_size 0
		.amdhsa_uses_dynamic_stack 0
		.amdhsa_system_sgpr_private_segment_wavefront_offset 0
		.amdhsa_system_sgpr_workgroup_id_x 1
		.amdhsa_system_sgpr_workgroup_id_y 1
		.amdhsa_system_sgpr_workgroup_id_z 1
		.amdhsa_system_sgpr_workgroup_info 0
		.amdhsa_system_vgpr_workitem_id 0
		.amdhsa_next_free_vgpr 21
		.amdhsa_next_free_sgpr 32
		.amdhsa_reserve_vcc 1
		.amdhsa_reserve_flat_scratch 0
		.amdhsa_float_round_mode_32 0
		.amdhsa_float_round_mode_16_64 0
		.amdhsa_float_denorm_mode_32 3
		.amdhsa_float_denorm_mode_16_64 3
		.amdhsa_dx10_clamp 1
		.amdhsa_ieee_mode 1
		.amdhsa_fp16_overflow 0
		.amdhsa_exception_fp_ieee_invalid_op 0
		.amdhsa_exception_fp_denorm_src 0
		.amdhsa_exception_fp_ieee_div_zero 0
		.amdhsa_exception_fp_ieee_overflow 0
		.amdhsa_exception_fp_ieee_underflow 0
		.amdhsa_exception_fp_ieee_inexact 0
		.amdhsa_exception_int_div_zero 0
	.end_amdhsa_kernel
	.section	.text._ZN9rocsolver6v33100L17larf_right_kernelILi1024E19rocblas_complex_numIdEiPKPS3_EEvT1_S7_T2_lS7_lPKT0_lS8_lS7_l,"axG",@progbits,_ZN9rocsolver6v33100L17larf_right_kernelILi1024E19rocblas_complex_numIdEiPKPS3_EEvT1_S7_T2_lS7_lPKT0_lS8_lS7_l,comdat
.Lfunc_end53:
	.size	_ZN9rocsolver6v33100L17larf_right_kernelILi1024E19rocblas_complex_numIdEiPKPS3_EEvT1_S7_T2_lS7_lPKT0_lS8_lS7_l, .Lfunc_end53-_ZN9rocsolver6v33100L17larf_right_kernelILi1024E19rocblas_complex_numIdEiPKPS3_EEvT1_S7_T2_lS7_lPKT0_lS8_lS7_l
                                        ; -- End function
	.set _ZN9rocsolver6v33100L17larf_right_kernelILi1024E19rocblas_complex_numIdEiPKPS3_EEvT1_S7_T2_lS7_lPKT0_lS8_lS7_l.num_vgpr, 21
	.set _ZN9rocsolver6v33100L17larf_right_kernelILi1024E19rocblas_complex_numIdEiPKPS3_EEvT1_S7_T2_lS7_lPKT0_lS8_lS7_l.num_agpr, 0
	.set _ZN9rocsolver6v33100L17larf_right_kernelILi1024E19rocblas_complex_numIdEiPKPS3_EEvT1_S7_T2_lS7_lPKT0_lS8_lS7_l.numbered_sgpr, 32
	.set _ZN9rocsolver6v33100L17larf_right_kernelILi1024E19rocblas_complex_numIdEiPKPS3_EEvT1_S7_T2_lS7_lPKT0_lS8_lS7_l.num_named_barrier, 0
	.set _ZN9rocsolver6v33100L17larf_right_kernelILi1024E19rocblas_complex_numIdEiPKPS3_EEvT1_S7_T2_lS7_lPKT0_lS8_lS7_l.private_seg_size, 0
	.set _ZN9rocsolver6v33100L17larf_right_kernelILi1024E19rocblas_complex_numIdEiPKPS3_EEvT1_S7_T2_lS7_lPKT0_lS8_lS7_l.uses_vcc, 1
	.set _ZN9rocsolver6v33100L17larf_right_kernelILi1024E19rocblas_complex_numIdEiPKPS3_EEvT1_S7_T2_lS7_lPKT0_lS8_lS7_l.uses_flat_scratch, 0
	.set _ZN9rocsolver6v33100L17larf_right_kernelILi1024E19rocblas_complex_numIdEiPKPS3_EEvT1_S7_T2_lS7_lPKT0_lS8_lS7_l.has_dyn_sized_stack, 0
	.set _ZN9rocsolver6v33100L17larf_right_kernelILi1024E19rocblas_complex_numIdEiPKPS3_EEvT1_S7_T2_lS7_lPKT0_lS8_lS7_l.has_recursion, 0
	.set _ZN9rocsolver6v33100L17larf_right_kernelILi1024E19rocblas_complex_numIdEiPKPS3_EEvT1_S7_T2_lS7_lPKT0_lS8_lS7_l.has_indirect_call, 0
	.section	.AMDGPU.csdata,"",@progbits
; Kernel info:
; codeLenInByte = 1844
; TotalNumSgprs: 36
; NumVgprs: 21
; ScratchSize: 0
; MemoryBound: 0
; FloatMode: 240
; IeeeMode: 1
; LDSByteSize: 0 bytes/workgroup (compile time only)
; SGPRBlocks: 4
; VGPRBlocks: 5
; NumSGPRsForWavesPerEU: 36
; NumVGPRsForWavesPerEU: 21
; Occupancy: 10
; WaveLimiterHint : 0
; COMPUTE_PGM_RSRC2:SCRATCH_EN: 0
; COMPUTE_PGM_RSRC2:USER_SGPR: 6
; COMPUTE_PGM_RSRC2:TRAP_HANDLER: 0
; COMPUTE_PGM_RSRC2:TGID_X_EN: 1
; COMPUTE_PGM_RSRC2:TGID_Y_EN: 1
; COMPUTE_PGM_RSRC2:TGID_Z_EN: 1
; COMPUTE_PGM_RSRC2:TIDIG_COMP_CNT: 0
	.section	.text._ZN9rocsolver6v33100L9get_arrayI19rocblas_complex_numIdEiEEvPPT_S5_lT0_,"axG",@progbits,_ZN9rocsolver6v33100L9get_arrayI19rocblas_complex_numIdEiEEvPPT_S5_lT0_,comdat
	.globl	_ZN9rocsolver6v33100L9get_arrayI19rocblas_complex_numIdEiEEvPPT_S5_lT0_ ; -- Begin function _ZN9rocsolver6v33100L9get_arrayI19rocblas_complex_numIdEiEEvPPT_S5_lT0_
	.p2align	8
	.type	_ZN9rocsolver6v33100L9get_arrayI19rocblas_complex_numIdEiEEvPPT_S5_lT0_,@function
_ZN9rocsolver6v33100L9get_arrayI19rocblas_complex_numIdEiEEvPPT_S5_lT0_: ; @_ZN9rocsolver6v33100L9get_arrayI19rocblas_complex_numIdEiEEvPPT_S5_lT0_
; %bb.0:
	s_load_dword s0, s[4:5], 0x2c
	s_load_dword s1, s[4:5], 0x18
	s_waitcnt lgkmcnt(0)
	s_and_b32 s0, s0, 0xffff
	s_mul_i32 s6, s6, s0
	v_add_u32_e32 v0, s6, v0
	v_cmp_gt_i32_e32 vcc, s1, v0
	s_and_saveexec_b64 s[0:1], vcc
	s_cbranch_execz .LBB54_2
; %bb.1:
	s_load_dwordx2 s[6:7], s[4:5], 0x10
	s_load_dwordx4 s[0:3], s[4:5], 0x0
	v_ashrrev_i32_e32 v1, 31, v0
	s_waitcnt lgkmcnt(0)
	v_mul_lo_u32 v4, s7, v0
	v_mul_lo_u32 v5, s6, v1
	v_mad_u64_u32 v[2:3], s[4:5], s6, v0, 0
	v_mov_b32_e32 v6, s3
	v_lshlrev_b64 v[0:1], 3, v[0:1]
	v_add3_u32 v3, v3, v5, v4
	v_lshlrev_b64 v[2:3], 4, v[2:3]
	v_mov_b32_e32 v4, s1
	v_add_co_u32_e32 v2, vcc, s2, v2
	v_addc_co_u32_e32 v3, vcc, v6, v3, vcc
	v_add_co_u32_e32 v0, vcc, s0, v0
	v_addc_co_u32_e32 v1, vcc, v4, v1, vcc
	global_store_dwordx2 v[0:1], v[2:3], off
.LBB54_2:
	s_endpgm
	.section	.rodata,"a",@progbits
	.p2align	6, 0x0
	.amdhsa_kernel _ZN9rocsolver6v33100L9get_arrayI19rocblas_complex_numIdEiEEvPPT_S5_lT0_
		.amdhsa_group_segment_fixed_size 0
		.amdhsa_private_segment_fixed_size 0
		.amdhsa_kernarg_size 288
		.amdhsa_user_sgpr_count 6
		.amdhsa_user_sgpr_private_segment_buffer 1
		.amdhsa_user_sgpr_dispatch_ptr 0
		.amdhsa_user_sgpr_queue_ptr 0
		.amdhsa_user_sgpr_kernarg_segment_ptr 1
		.amdhsa_user_sgpr_dispatch_id 0
		.amdhsa_user_sgpr_flat_scratch_init 0
		.amdhsa_user_sgpr_private_segment_size 0
		.amdhsa_uses_dynamic_stack 0
		.amdhsa_system_sgpr_private_segment_wavefront_offset 0
		.amdhsa_system_sgpr_workgroup_id_x 1
		.amdhsa_system_sgpr_workgroup_id_y 0
		.amdhsa_system_sgpr_workgroup_id_z 0
		.amdhsa_system_sgpr_workgroup_info 0
		.amdhsa_system_vgpr_workitem_id 0
		.amdhsa_next_free_vgpr 7
		.amdhsa_next_free_sgpr 8
		.amdhsa_reserve_vcc 1
		.amdhsa_reserve_flat_scratch 0
		.amdhsa_float_round_mode_32 0
		.amdhsa_float_round_mode_16_64 0
		.amdhsa_float_denorm_mode_32 3
		.amdhsa_float_denorm_mode_16_64 3
		.amdhsa_dx10_clamp 1
		.amdhsa_ieee_mode 1
		.amdhsa_fp16_overflow 0
		.amdhsa_exception_fp_ieee_invalid_op 0
		.amdhsa_exception_fp_denorm_src 0
		.amdhsa_exception_fp_ieee_div_zero 0
		.amdhsa_exception_fp_ieee_overflow 0
		.amdhsa_exception_fp_ieee_underflow 0
		.amdhsa_exception_fp_ieee_inexact 0
		.amdhsa_exception_int_div_zero 0
	.end_amdhsa_kernel
	.section	.text._ZN9rocsolver6v33100L9get_arrayI19rocblas_complex_numIdEiEEvPPT_S5_lT0_,"axG",@progbits,_ZN9rocsolver6v33100L9get_arrayI19rocblas_complex_numIdEiEEvPPT_S5_lT0_,comdat
.Lfunc_end54:
	.size	_ZN9rocsolver6v33100L9get_arrayI19rocblas_complex_numIdEiEEvPPT_S5_lT0_, .Lfunc_end54-_ZN9rocsolver6v33100L9get_arrayI19rocblas_complex_numIdEiEEvPPT_S5_lT0_
                                        ; -- End function
	.set _ZN9rocsolver6v33100L9get_arrayI19rocblas_complex_numIdEiEEvPPT_S5_lT0_.num_vgpr, 7
	.set _ZN9rocsolver6v33100L9get_arrayI19rocblas_complex_numIdEiEEvPPT_S5_lT0_.num_agpr, 0
	.set _ZN9rocsolver6v33100L9get_arrayI19rocblas_complex_numIdEiEEvPPT_S5_lT0_.numbered_sgpr, 8
	.set _ZN9rocsolver6v33100L9get_arrayI19rocblas_complex_numIdEiEEvPPT_S5_lT0_.num_named_barrier, 0
	.set _ZN9rocsolver6v33100L9get_arrayI19rocblas_complex_numIdEiEEvPPT_S5_lT0_.private_seg_size, 0
	.set _ZN9rocsolver6v33100L9get_arrayI19rocblas_complex_numIdEiEEvPPT_S5_lT0_.uses_vcc, 1
	.set _ZN9rocsolver6v33100L9get_arrayI19rocblas_complex_numIdEiEEvPPT_S5_lT0_.uses_flat_scratch, 0
	.set _ZN9rocsolver6v33100L9get_arrayI19rocblas_complex_numIdEiEEvPPT_S5_lT0_.has_dyn_sized_stack, 0
	.set _ZN9rocsolver6v33100L9get_arrayI19rocblas_complex_numIdEiEEvPPT_S5_lT0_.has_recursion, 0
	.set _ZN9rocsolver6v33100L9get_arrayI19rocblas_complex_numIdEiEEvPPT_S5_lT0_.has_indirect_call, 0
	.section	.AMDGPU.csdata,"",@progbits
; Kernel info:
; codeLenInByte = 156
; TotalNumSgprs: 12
; NumVgprs: 7
; ScratchSize: 0
; MemoryBound: 0
; FloatMode: 240
; IeeeMode: 1
; LDSByteSize: 0 bytes/workgroup (compile time only)
; SGPRBlocks: 1
; VGPRBlocks: 1
; NumSGPRsForWavesPerEU: 12
; NumVGPRsForWavesPerEU: 7
; Occupancy: 10
; WaveLimiterHint : 0
; COMPUTE_PGM_RSRC2:SCRATCH_EN: 0
; COMPUTE_PGM_RSRC2:USER_SGPR: 6
; COMPUTE_PGM_RSRC2:TRAP_HANDLER: 0
; COMPUTE_PGM_RSRC2:TGID_X_EN: 1
; COMPUTE_PGM_RSRC2:TGID_Y_EN: 0
; COMPUTE_PGM_RSRC2:TGID_Z_EN: 0
; COMPUTE_PGM_RSRC2:TIDIG_COMP_CNT: 0
	.section	.text._ZN9rocsolver6v33100L12restore_diagI19rocblas_complex_numIdEiS3_PKPS3_EEvPT1_llT2_lT0_lSA_,"axG",@progbits,_ZN9rocsolver6v33100L12restore_diagI19rocblas_complex_numIdEiS3_PKPS3_EEvPT1_llT2_lT0_lSA_,comdat
	.globl	_ZN9rocsolver6v33100L12restore_diagI19rocblas_complex_numIdEiS3_PKPS3_EEvPT1_llT2_lT0_lSA_ ; -- Begin function _ZN9rocsolver6v33100L12restore_diagI19rocblas_complex_numIdEiS3_PKPS3_EEvPT1_llT2_lT0_lSA_
	.p2align	8
	.type	_ZN9rocsolver6v33100L12restore_diagI19rocblas_complex_numIdEiS3_PKPS3_EEvPT1_llT2_lT0_lSA_,@function
_ZN9rocsolver6v33100L12restore_diagI19rocblas_complex_numIdEiS3_PKPS3_EEvPT1_llT2_lT0_lSA_: ; @_ZN9rocsolver6v33100L12restore_diagI19rocblas_complex_numIdEiS3_PKPS3_EEvPT1_llT2_lT0_lSA_
; %bb.0:
	s_load_dword s0, s[4:5], 0x4c
	s_load_dword s1, s[4:5], 0x38
	s_waitcnt lgkmcnt(0)
	s_lshr_b32 s0, s0, 16
	s_mul_i32 s7, s7, s0
	v_add_u32_e32 v0, s7, v1
	v_cmp_gt_i32_e32 vcc, s1, v0
	s_and_saveexec_b64 s[0:1], vcc
	s_cbranch_execz .LBB55_2
; %bb.1:
	s_load_dwordx8 s[8:15], s[4:5], 0x0
	s_load_dwordx2 s[0:1], s[4:5], 0x20
	s_ashr_i32 s7, s6, 31
	s_lshl_b64 s[2:3], s[6:7], 3
	s_waitcnt lgkmcnt(0)
	s_add_u32 s2, s14, s2
	s_addc_u32 s3, s15, s3
	s_load_dwordx2 s[14:15], s[2:3], 0x0
	s_load_dword s16, s[4:5], 0x28
	s_lshl_b64 s[0:1], s[0:1], 4
	s_mul_hi_u32 s2, s12, s6
	s_mul_i32 s3, s12, s7
	s_waitcnt lgkmcnt(0)
	s_add_u32 s4, s14, s0
	s_addc_u32 s5, s15, s1
	s_add_i32 s0, s2, s3
	s_mul_i32 s1, s13, s6
	s_add_i32 s1, s0, s1
	s_mul_i32 s0, s12, s6
	s_lshl_b64 s[0:1], s[0:1], 4
	s_add_u32 s2, s8, s0
	s_addc_u32 s3, s9, s1
	s_lshl_b64 s[0:1], s[10:11], 4
	s_add_u32 s2, s2, s0
	s_addc_u32 s3, s3, s1
	v_mad_u64_u32 v[4:5], s[0:1], v0, s16, v[0:1]
	v_ashrrev_i32_e32 v1, 31, v0
	v_lshlrev_b64 v[0:1], 4, v[0:1]
	v_mov_b32_e32 v2, s3
	v_add_co_u32_e32 v0, vcc, s2, v0
	v_addc_co_u32_e32 v1, vcc, v2, v1, vcc
	global_load_dwordx4 v[0:3], v[0:1], off
	v_ashrrev_i32_e32 v5, 31, v4
	v_lshlrev_b64 v[4:5], 4, v[4:5]
	v_mov_b32_e32 v6, s5
	v_add_co_u32_e32 v4, vcc, s4, v4
	v_addc_co_u32_e32 v5, vcc, v6, v5, vcc
	s_waitcnt vmcnt(0)
	flat_store_dwordx4 v[4:5], v[0:3]
.LBB55_2:
	s_endpgm
	.section	.rodata,"a",@progbits
	.p2align	6, 0x0
	.amdhsa_kernel _ZN9rocsolver6v33100L12restore_diagI19rocblas_complex_numIdEiS3_PKPS3_EEvPT1_llT2_lT0_lSA_
		.amdhsa_group_segment_fixed_size 0
		.amdhsa_private_segment_fixed_size 0
		.amdhsa_kernarg_size 320
		.amdhsa_user_sgpr_count 6
		.amdhsa_user_sgpr_private_segment_buffer 1
		.amdhsa_user_sgpr_dispatch_ptr 0
		.amdhsa_user_sgpr_queue_ptr 0
		.amdhsa_user_sgpr_kernarg_segment_ptr 1
		.amdhsa_user_sgpr_dispatch_id 0
		.amdhsa_user_sgpr_flat_scratch_init 0
		.amdhsa_user_sgpr_private_segment_size 0
		.amdhsa_uses_dynamic_stack 0
		.amdhsa_system_sgpr_private_segment_wavefront_offset 0
		.amdhsa_system_sgpr_workgroup_id_x 1
		.amdhsa_system_sgpr_workgroup_id_y 1
		.amdhsa_system_sgpr_workgroup_id_z 0
		.amdhsa_system_sgpr_workgroup_info 0
		.amdhsa_system_vgpr_workitem_id 1
		.amdhsa_next_free_vgpr 7
		.amdhsa_next_free_sgpr 17
		.amdhsa_reserve_vcc 1
		.amdhsa_reserve_flat_scratch 0
		.amdhsa_float_round_mode_32 0
		.amdhsa_float_round_mode_16_64 0
		.amdhsa_float_denorm_mode_32 3
		.amdhsa_float_denorm_mode_16_64 3
		.amdhsa_dx10_clamp 1
		.amdhsa_ieee_mode 1
		.amdhsa_fp16_overflow 0
		.amdhsa_exception_fp_ieee_invalid_op 0
		.amdhsa_exception_fp_denorm_src 0
		.amdhsa_exception_fp_ieee_div_zero 0
		.amdhsa_exception_fp_ieee_overflow 0
		.amdhsa_exception_fp_ieee_underflow 0
		.amdhsa_exception_fp_ieee_inexact 0
		.amdhsa_exception_int_div_zero 0
	.end_amdhsa_kernel
	.section	.text._ZN9rocsolver6v33100L12restore_diagI19rocblas_complex_numIdEiS3_PKPS3_EEvPT1_llT2_lT0_lSA_,"axG",@progbits,_ZN9rocsolver6v33100L12restore_diagI19rocblas_complex_numIdEiS3_PKPS3_EEvPT1_llT2_lT0_lSA_,comdat
.Lfunc_end55:
	.size	_ZN9rocsolver6v33100L12restore_diagI19rocblas_complex_numIdEiS3_PKPS3_EEvPT1_llT2_lT0_lSA_, .Lfunc_end55-_ZN9rocsolver6v33100L12restore_diagI19rocblas_complex_numIdEiS3_PKPS3_EEvPT1_llT2_lT0_lSA_
                                        ; -- End function
	.set _ZN9rocsolver6v33100L12restore_diagI19rocblas_complex_numIdEiS3_PKPS3_EEvPT1_llT2_lT0_lSA_.num_vgpr, 7
	.set _ZN9rocsolver6v33100L12restore_diagI19rocblas_complex_numIdEiS3_PKPS3_EEvPT1_llT2_lT0_lSA_.num_agpr, 0
	.set _ZN9rocsolver6v33100L12restore_diagI19rocblas_complex_numIdEiS3_PKPS3_EEvPT1_llT2_lT0_lSA_.numbered_sgpr, 17
	.set _ZN9rocsolver6v33100L12restore_diagI19rocblas_complex_numIdEiS3_PKPS3_EEvPT1_llT2_lT0_lSA_.num_named_barrier, 0
	.set _ZN9rocsolver6v33100L12restore_diagI19rocblas_complex_numIdEiS3_PKPS3_EEvPT1_llT2_lT0_lSA_.private_seg_size, 0
	.set _ZN9rocsolver6v33100L12restore_diagI19rocblas_complex_numIdEiS3_PKPS3_EEvPT1_llT2_lT0_lSA_.uses_vcc, 1
	.set _ZN9rocsolver6v33100L12restore_diagI19rocblas_complex_numIdEiS3_PKPS3_EEvPT1_llT2_lT0_lSA_.uses_flat_scratch, 0
	.set _ZN9rocsolver6v33100L12restore_diagI19rocblas_complex_numIdEiS3_PKPS3_EEvPT1_llT2_lT0_lSA_.has_dyn_sized_stack, 0
	.set _ZN9rocsolver6v33100L12restore_diagI19rocblas_complex_numIdEiS3_PKPS3_EEvPT1_llT2_lT0_lSA_.has_recursion, 0
	.set _ZN9rocsolver6v33100L12restore_diagI19rocblas_complex_numIdEiS3_PKPS3_EEvPT1_llT2_lT0_lSA_.has_indirect_call, 0
	.section	.AMDGPU.csdata,"",@progbits
; Kernel info:
; codeLenInByte = 240
; TotalNumSgprs: 21
; NumVgprs: 7
; ScratchSize: 0
; MemoryBound: 0
; FloatMode: 240
; IeeeMode: 1
; LDSByteSize: 0 bytes/workgroup (compile time only)
; SGPRBlocks: 2
; VGPRBlocks: 1
; NumSGPRsForWavesPerEU: 21
; NumVGPRsForWavesPerEU: 7
; Occupancy: 10
; WaveLimiterHint : 1
; COMPUTE_PGM_RSRC2:SCRATCH_EN: 0
; COMPUTE_PGM_RSRC2:USER_SGPR: 6
; COMPUTE_PGM_RSRC2:TRAP_HANDLER: 0
; COMPUTE_PGM_RSRC2:TGID_X_EN: 1
; COMPUTE_PGM_RSRC2:TGID_Y_EN: 1
; COMPUTE_PGM_RSRC2:TGID_Z_EN: 0
; COMPUTE_PGM_RSRC2:TIDIG_COMP_CNT: 1
	.section	.text._ZN9rocsolver6v33100L14set_triangularI19rocblas_complex_numIdEPKPS3_TnNSt9enable_ifIX18rocblas_is_complexIT_EEiE4typeELi0EEEviiT0_iilPS8_lSC_il15rocblas_direct_15rocblas_storev_b,"axG",@progbits,_ZN9rocsolver6v33100L14set_triangularI19rocblas_complex_numIdEPKPS3_TnNSt9enable_ifIX18rocblas_is_complexIT_EEiE4typeELi0EEEviiT0_iilPS8_lSC_il15rocblas_direct_15rocblas_storev_b,comdat
	.globl	_ZN9rocsolver6v33100L14set_triangularI19rocblas_complex_numIdEPKPS3_TnNSt9enable_ifIX18rocblas_is_complexIT_EEiE4typeELi0EEEviiT0_iilPS8_lSC_il15rocblas_direct_15rocblas_storev_b ; -- Begin function _ZN9rocsolver6v33100L14set_triangularI19rocblas_complex_numIdEPKPS3_TnNSt9enable_ifIX18rocblas_is_complexIT_EEiE4typeELi0EEEviiT0_iilPS8_lSC_il15rocblas_direct_15rocblas_storev_b
	.p2align	8
	.type	_ZN9rocsolver6v33100L14set_triangularI19rocblas_complex_numIdEPKPS3_TnNSt9enable_ifIX18rocblas_is_complexIT_EEiE4typeELi0EEEviiT0_iilPS8_lSC_il15rocblas_direct_15rocblas_storev_b,@function
_ZN9rocsolver6v33100L14set_triangularI19rocblas_complex_numIdEPKPS3_TnNSt9enable_ifIX18rocblas_is_complexIT_EEiE4typeELi0EEEviiT0_iilPS8_lSC_il15rocblas_direct_15rocblas_storev_b: ; @_ZN9rocsolver6v33100L14set_triangularI19rocblas_complex_numIdEPKPS3_TnNSt9enable_ifIX18rocblas_is_complexIT_EEiE4typeELi0EEEviiT0_iilPS8_lSC_il15rocblas_direct_15rocblas_storev_b
; %bb.0:
	s_load_dword s0, s[4:5], 0x64
	s_load_dwordx2 s[10:11], s[4:5], 0x0
	s_waitcnt lgkmcnt(0)
	s_lshr_b32 s1, s0, 16
	s_and_b32 s0, s0, 0xffff
	s_mul_i32 s6, s6, s0
	s_mul_i32 s7, s7, s1
	v_add_u32_e32 v6, s6, v0
	v_add_u32_e32 v0, s7, v1
	v_max_u32_e32 v1, v6, v0
	v_cmp_gt_u32_e32 vcc, s11, v1
	s_and_saveexec_b64 s[0:1], vcc
	s_cbranch_execz .LBB56_36
; %bb.1:
	s_load_dwordx4 s[0:3], s[4:5], 0x20
	s_load_dwordx2 s[6:7], s[4:5], 0x30
	s_load_dword s16, s[4:5], 0x38
	s_load_dwordx2 s[12:13], s[4:5], 0x40
	v_cmp_ne_u32_e32 vcc, v0, v6
	s_waitcnt lgkmcnt(0)
	s_mul_i32 s3, s3, s8
	s_mul_hi_u32 s9, s2, s8
	s_add_i32 s3, s9, s3
	s_mul_i32 s2, s2, s8
	s_lshl_b64 s[2:3], s[2:3], 4
	s_add_u32 s19, s0, s2
	s_addc_u32 s20, s1, s3
	s_mul_i32 s0, s13, s8
	s_mul_hi_u32 s1, s12, s8
	s_add_i32 s1, s1, s0
	s_mul_i32 s0, s12, s8
	s_lshl_b64 s[0:1], s[0:1], 4
	s_add_u32 s17, s6, s0
	s_addc_u32 s18, s7, s1
	s_and_saveexec_b64 s[0:1], vcc
	s_xor_b64 s[6:7], exec, s[0:1]
	s_cbranch_execz .LBB56_34
; %bb.2:
	s_load_dwordx4 s[0:3], s[4:5], 0x8
	s_load_dwordx4 s[12:15], s[4:5], 0x48
	s_mov_b32 s9, 0
	s_lshl_b64 s[4:5], s[8:9], 3
	v_mov_b32_e32 v7, 0
	s_waitcnt lgkmcnt(0)
	s_ashr_i32 s9, s2, 31
	s_add_u32 s0, s0, s4
	s_addc_u32 s1, s1, s5
	s_load_dwordx2 s[0:1], s[0:1], 0x0
	s_mov_b32 s8, s2
	s_lshl_b64 s[4:5], s[8:9], 4
	s_waitcnt lgkmcnt(0)
	s_add_u32 s2, s0, s4
	s_addc_u32 s15, s1, s5
	s_bitcmp1_b32 s14, 0
	s_cselect_b64 s[0:1], -1, 0
	s_xor_b64 s[0:1], s[0:1], -1
	s_mov_b64 s[4:5], -1
	s_cmpk_lg_i32 s12, 0xab
	s_cbranch_scc0 .LBB56_18
; %bb.3:
	v_cmp_le_u32_e32 vcc, v0, v6
	s_and_saveexec_b64 s[4:5], vcc
	s_xor_b64 s[4:5], exec, s[4:5]
	s_cbranch_execz .LBB56_5
; %bb.4:
	v_mad_u64_u32 v[2:3], s[8:9], v6, s16, 0
	s_ashr_i32 s8, s16, 31
	v_mov_b32_e32 v1, v3
	v_mad_u64_u32 v[3:4], s[8:9], v6, s8, v[1:2]
	v_mov_b32_e32 v1, 0
	v_mov_b32_e32 v4, s18
	v_lshlrev_b64 v[2:3], 4, v[2:3]
	v_add_co_u32_e32 v5, vcc, s17, v2
	v_addc_co_u32_e32 v4, vcc, v4, v3, vcc
	v_lshlrev_b64 v[2:3], 4, v[0:1]
	v_add_co_u32_e32 v8, vcc, v5, v2
	v_addc_co_u32_e32 v9, vcc, v4, v3, vcc
	v_mov_b32_e32 v2, v1
	v_mov_b32_e32 v3, v1
	;; [unrolled: 1-line block ×4, first 2 shown]
	global_store_dwordx4 v[8:9], v[2:5], off
.LBB56_5:
	s_andn2_saveexec_b64 s[4:5], s[4:5]
	s_cbranch_execz .LBB56_17
; %bb.6:
	v_lshlrev_b64 v[1:2], 4, v[6:7]
	v_mov_b32_e32 v3, s20
	v_add_co_u32_e32 v1, vcc, s19, v1
	v_addc_co_u32_e32 v2, vcc, v3, v2, vcc
	global_load_dwordx4 v[2:5], v[1:2], off
	s_cmpk_lg_i32 s13, 0xb5
	s_mov_b64 s[8:9], -1
	s_cbranch_scc0 .LBB56_12
; %bb.7:
	v_mov_b32_e32 v1, 0
	v_lshlrev_b64 v[8:9], 4, v[0:1]
	s_andn2_b64 vcc, exec, s[0:1]
	s_cbranch_vccnz .LBB56_9
; %bb.8:
	s_sub_i32 s8, s10, s11
	v_add_u32_e32 v12, s8, v6
	v_mad_u64_u32 v[10:11], s[8:9], v12, s3, 0
	s_ashr_i32 s8, s3, 31
	v_mov_b32_e32 v1, v11
	s_waitcnt vmcnt(0)
	v_mad_u64_u32 v[11:12], s[8:9], v12, s8, v[1:2]
	v_mov_b32_e32 v1, s15
	v_mad_u64_u32 v[18:19], s[8:9], v6, s16, 0
	v_lshlrev_b64 v[10:11], 4, v[10:11]
	s_ashr_i32 s8, s16, 31
	v_add_co_u32_e32 v10, vcc, s2, v10
	v_addc_co_u32_e32 v1, vcc, v1, v11, vcc
	v_add_co_u32_e32 v10, vcc, v10, v8
	v_addc_co_u32_e32 v11, vcc, v1, v9, vcc
	flat_load_dwordx4 v[10:13], v[10:11]
	v_mov_b32_e32 v1, v19
	s_waitcnt vmcnt(0) lgkmcnt(0)
	v_mul_f64 v[14:15], v[2:3], v[10:11]
	v_mul_f64 v[16:17], v[2:3], v[12:13]
	v_fma_f64 v[12:13], v[4:5], v[12:13], -v[14:15]
	v_fma_f64 v[14:15], v[10:11], -v[4:5], -v[16:17]
	v_mad_u64_u32 v[10:11], s[8:9], v6, s8, v[1:2]
	v_mov_b32_e32 v1, s18
	s_mov_b64 s[8:9], 0
	v_mov_b32_e32 v19, v10
	v_lshlrev_b64 v[10:11], 4, v[18:19]
	v_add_co_u32_e32 v10, vcc, s17, v10
	v_addc_co_u32_e32 v1, vcc, v1, v11, vcc
	v_add_co_u32_e32 v10, vcc, v10, v8
	v_addc_co_u32_e32 v11, vcc, v1, v9, vcc
	global_store_dwordx4 v[10:11], v[12:15], off
.LBB56_9:
	s_andn2_b64 vcc, exec, s[8:9]
	s_cbranch_vccnz .LBB56_11
; %bb.10:
	v_mad_u64_u32 v[10:11], s[8:9], v6, s16, 0
	s_ashr_i32 s8, s16, 31
	v_mov_b32_e32 v1, v11
	s_waitcnt vmcnt(0)
	v_mad_u64_u32 v[11:12], s[8:9], v6, s8, v[1:2]
	s_sub_i32 s8, s10, s11
	v_add_u32_e32 v14, s8, v6
	v_mad_u64_u32 v[12:13], s[8:9], v14, s3, 0
	v_lshlrev_b64 v[10:11], 4, v[10:11]
	v_mov_b32_e32 v1, s18
	v_add_co_u32_e32 v15, vcc, s17, v10
	v_addc_co_u32_e32 v17, vcc, v1, v11, vcc
	s_ashr_i32 s8, s3, 31
	v_mov_b32_e32 v1, v13
	v_mad_u64_u32 v[10:11], s[8:9], v14, s8, v[1:2]
	v_add_co_u32_e32 v16, vcc, v15, v8
	v_mov_b32_e32 v13, v10
	v_lshlrev_b64 v[10:11], 4, v[12:13]
	v_addc_co_u32_e32 v17, vcc, v17, v9, vcc
	v_mov_b32_e32 v1, s15
	v_add_co_u32_e32 v10, vcc, s2, v10
	v_addc_co_u32_e32 v1, vcc, v1, v11, vcc
	v_add_co_u32_e32 v18, vcc, v10, v8
	v_addc_co_u32_e32 v19, vcc, v1, v9, vcc
	global_load_dwordx4 v[8:11], v[16:17], off
	flat_load_dwordx4 v[12:15], v[18:19]
	s_waitcnt vmcnt(0) lgkmcnt(0)
	v_add_f64 v[12:13], v[12:13], v[8:9]
	v_add_f64 v[8:9], v[14:15], v[10:11]
	v_mul_f64 v[10:11], v[2:3], v[12:13]
	v_mul_f64 v[14:15], v[2:3], v[8:9]
	v_fma_f64 v[8:9], v[4:5], v[8:9], -v[10:11]
	v_fma_f64 v[10:11], v[12:13], -v[4:5], -v[14:15]
	global_store_dwordx4 v[16:17], v[8:11], off
.LBB56_11:
	s_mov_b64 s[8:9], 0
.LBB56_12:
	s_andn2_b64 vcc, exec, s[8:9]
	s_cbranch_vccnz .LBB56_17
; %bb.13:
	s_andn2_b64 vcc, exec, s[0:1]
	s_mov_b64 s[8:9], -1
	s_cbranch_vccnz .LBB56_15
; %bb.14:
	v_mad_u64_u32 v[8:9], s[8:9], v0, s3, 0
	s_ashr_i32 s8, s3, 31
	v_mov_b32_e32 v12, 0
	v_mov_b32_e32 v1, v9
	s_waitcnt vmcnt(0)
	v_mad_u64_u32 v[9:10], s[8:9], v0, s8, v[1:2]
	s_sub_i32 s8, s10, s11
	v_add_u32_e32 v11, s8, v6
	v_lshlrev_b64 v[8:9], 4, v[8:9]
	v_mov_b32_e32 v1, s15
	v_add_co_u32_e32 v10, vcc, s2, v8
	v_addc_co_u32_e32 v1, vcc, v1, v9, vcc
	v_lshlrev_b64 v[8:9], 4, v[11:12]
	v_mov_b32_e32 v17, s18
	v_add_co_u32_e32 v8, vcc, v10, v8
	v_addc_co_u32_e32 v9, vcc, v1, v9, vcc
	flat_load_dwordx4 v[8:11], v[8:9]
	s_waitcnt vmcnt(0) lgkmcnt(0)
	v_mul_f64 v[13:14], v[4:5], v[10:11]
	v_mul_f64 v[15:16], v[4:5], v[8:9]
	v_fma_f64 v[8:9], v[8:9], -v[2:3], -v[13:14]
	v_mad_u64_u32 v[13:14], s[8:9], v6, s16, 0
	s_ashr_i32 s8, s16, 31
	v_fma_f64 v[10:11], v[2:3], v[10:11], -v[15:16]
	v_mov_b32_e32 v1, v14
	v_mad_u64_u32 v[14:15], s[8:9], v6, s8, v[1:2]
	v_mov_b32_e32 v1, v12
	v_lshlrev_b64 v[15:16], 4, v[0:1]
	v_lshlrev_b64 v[12:13], 4, v[13:14]
	s_mov_b64 s[8:9], 0
	v_add_co_u32_e32 v1, vcc, s17, v12
	v_addc_co_u32_e32 v13, vcc, v17, v13, vcc
	v_add_co_u32_e32 v12, vcc, v1, v15
	v_addc_co_u32_e32 v13, vcc, v13, v16, vcc
	global_store_dwordx4 v[12:13], v[8:11], off
.LBB56_15:
	s_andn2_b64 vcc, exec, s[8:9]
	s_cbranch_vccnz .LBB56_17
; %bb.16:
	v_mad_u64_u32 v[8:9], s[8:9], v6, s16, 0
	s_ashr_i32 s8, s16, 31
	v_mov_b32_e32 v1, v9
	s_waitcnt vmcnt(0)
	v_mad_u64_u32 v[9:10], s[8:9], v6, s8, v[1:2]
	v_mov_b32_e32 v10, s18
	v_mov_b32_e32 v1, 0
	v_lshlrev_b64 v[8:9], 4, v[8:9]
	v_add_co_u32_e32 v12, vcc, s17, v8
	v_addc_co_u32_e32 v13, vcc, v10, v9, vcc
	v_mad_u64_u32 v[10:11], s[8:9], v0, s3, 0
	v_lshlrev_b64 v[8:9], 4, v[0:1]
	s_ashr_i32 s8, s3, 31
	v_add_co_u32_e32 v16, vcc, v12, v8
	v_mov_b32_e32 v8, v11
	v_addc_co_u32_e32 v17, vcc, v13, v9, vcc
	v_mad_u64_u32 v[8:9], s[8:9], v0, s8, v[8:9]
	s_sub_i32 s8, s10, s11
	v_add_u32_e32 v12, s8, v6
	v_mov_b32_e32 v11, v8
	v_lshlrev_b64 v[8:9], 4, v[10:11]
	v_mov_b32_e32 v13, v1
	v_mov_b32_e32 v1, s15
	v_add_co_u32_e32 v10, vcc, s2, v8
	v_addc_co_u32_e32 v1, vcc, v1, v9, vcc
	v_lshlrev_b64 v[8:9], 4, v[12:13]
	v_add_co_u32_e32 v18, vcc, v10, v8
	v_addc_co_u32_e32 v19, vcc, v1, v9, vcc
	flat_load_dwordx4 v[8:11], v[18:19]
	global_load_dwordx4 v[12:15], v[16:17], off
	s_waitcnt vmcnt(0) lgkmcnt(0)
	v_add_f64 v[8:9], v[8:9], v[12:13]
	v_add_f64 v[10:11], v[14:15], -v[10:11]
	v_mul_f64 v[12:13], v[2:3], v[8:9]
	v_mul_f64 v[14:15], v[2:3], v[10:11]
	v_fma_f64 v[1:2], v[4:5], v[10:11], -v[12:13]
	v_fma_f64 v[3:4], v[8:9], -v[4:5], -v[14:15]
	global_store_dwordx4 v[16:17], v[1:4], off
.LBB56_17:
	s_or_b64 exec, exec, s[4:5]
	s_mov_b64 s[4:5], 0
.LBB56_18:
	s_andn2_b64 vcc, exec, s[4:5]
	s_cbranch_vccnz .LBB56_34
; %bb.19:
	v_cmp_ge_u32_e32 vcc, v0, v6
	s_and_saveexec_b64 s[4:5], vcc
	s_xor_b64 s[4:5], exec, s[4:5]
	s_cbranch_execz .LBB56_21
; %bb.20:
	s_waitcnt vmcnt(0)
	v_mad_u64_u32 v[2:3], s[8:9], v6, s16, 0
	s_ashr_i32 s8, s16, 31
	v_mov_b32_e32 v1, v3
	v_mad_u64_u32 v[3:4], s[8:9], v6, s8, v[1:2]
	v_mov_b32_e32 v1, 0
	v_mov_b32_e32 v4, s18
	v_lshlrev_b64 v[2:3], 4, v[2:3]
	v_add_co_u32_e32 v5, vcc, s17, v2
	v_addc_co_u32_e32 v6, vcc, v4, v3, vcc
	v_lshlrev_b64 v[2:3], 4, v[0:1]
	v_mov_b32_e32 v0, v1
	v_add_co_u32_e32 v4, vcc, v5, v2
	v_addc_co_u32_e32 v5, vcc, v6, v3, vcc
	v_mov_b32_e32 v2, v1
	v_mov_b32_e32 v3, v1
	global_store_dwordx4 v[4:5], v[0:3], off
                                        ; implicit-def: $vgpr6_vgpr7
                                        ; implicit-def: $vgpr0
.LBB56_21:
	s_andn2_saveexec_b64 s[4:5], s[4:5]
	s_cbranch_execz .LBB56_33
; %bb.22:
	v_lshlrev_b64 v[7:8], 4, v[6:7]
	s_waitcnt vmcnt(0)
	v_mov_b32_e32 v2, s20
	v_add_co_u32_e32 v1, vcc, s19, v7
	v_addc_co_u32_e32 v2, vcc, v2, v8, vcc
	global_load_dwordx4 v[2:5], v[1:2], off
	v_cndmask_b32_e64 v1, 0, 1, s[0:1]
	s_cmpk_lg_i32 s13, 0xb5
	s_mov_b64 s[8:9], -1
	v_cmp_ne_u32_e64 s[0:1], 1, v1
	s_cbranch_scc0 .LBB56_28
; %bb.23:
	v_mov_b32_e32 v1, 0
	v_lshlrev_b64 v[9:10], 4, v[0:1]
	s_and_b64 vcc, exec, s[0:1]
	s_cbranch_vccnz .LBB56_25
; %bb.24:
	v_mad_u64_u32 v[11:12], s[8:9], v6, s3, 0
	s_ashr_i32 s8, s3, 31
	v_mov_b32_e32 v1, v12
	s_waitcnt vmcnt(0)
	v_mad_u64_u32 v[12:13], s[8:9], v6, s8, v[1:2]
	v_mov_b32_e32 v1, s15
	v_mad_u64_u32 v[19:20], s[8:9], v6, s16, 0
	v_lshlrev_b64 v[11:12], 4, v[11:12]
	s_ashr_i32 s8, s16, 31
	v_add_co_u32_e32 v11, vcc, s2, v11
	v_addc_co_u32_e32 v1, vcc, v1, v12, vcc
	v_add_co_u32_e32 v11, vcc, v11, v9
	v_addc_co_u32_e32 v12, vcc, v1, v10, vcc
	flat_load_dwordx4 v[11:14], v[11:12]
	v_mov_b32_e32 v1, v20
	s_waitcnt vmcnt(0) lgkmcnt(0)
	v_mul_f64 v[15:16], v[2:3], v[11:12]
	v_mul_f64 v[17:18], v[2:3], v[13:14]
	v_fma_f64 v[13:14], v[4:5], v[13:14], -v[15:16]
	v_fma_f64 v[15:16], v[11:12], -v[4:5], -v[17:18]
	v_mad_u64_u32 v[11:12], s[8:9], v6, s8, v[1:2]
	v_mov_b32_e32 v1, s18
	s_mov_b64 s[8:9], 0
	v_mov_b32_e32 v20, v11
	v_lshlrev_b64 v[11:12], 4, v[19:20]
	v_add_co_u32_e32 v11, vcc, s17, v11
	v_addc_co_u32_e32 v1, vcc, v1, v12, vcc
	v_add_co_u32_e32 v11, vcc, v11, v9
	v_addc_co_u32_e32 v12, vcc, v1, v10, vcc
	global_store_dwordx4 v[11:12], v[13:16], off
.LBB56_25:
	s_andn2_b64 vcc, exec, s[8:9]
	s_cbranch_vccnz .LBB56_27
; %bb.26:
	v_mad_u64_u32 v[11:12], s[8:9], v6, s16, 0
	s_ashr_i32 s8, s16, 31
	v_mov_b32_e32 v1, v12
	s_waitcnt vmcnt(0)
	v_mad_u64_u32 v[12:13], s[8:9], v6, s8, v[1:2]
	v_mad_u64_u32 v[13:14], s[8:9], v6, s3, 0
	v_lshlrev_b64 v[11:12], 4, v[11:12]
	v_mov_b32_e32 v1, s18
	v_add_co_u32_e32 v15, vcc, s17, v11
	v_addc_co_u32_e32 v16, vcc, v1, v12, vcc
	s_ashr_i32 s8, s3, 31
	v_mov_b32_e32 v1, v14
	v_mad_u64_u32 v[11:12], s[8:9], v6, s8, v[1:2]
	v_add_co_u32_e32 v17, vcc, v15, v9
	v_mov_b32_e32 v14, v11
	v_lshlrev_b64 v[11:12], 4, v[13:14]
	v_addc_co_u32_e32 v18, vcc, v16, v10, vcc
	v_mov_b32_e32 v1, s15
	v_add_co_u32_e32 v11, vcc, s2, v11
	v_addc_co_u32_e32 v1, vcc, v1, v12, vcc
	v_add_co_u32_e32 v19, vcc, v11, v9
	v_addc_co_u32_e32 v20, vcc, v1, v10, vcc
	flat_load_dwordx4 v[9:12], v[19:20]
	global_load_dwordx4 v[13:16], v[17:18], off
	s_waitcnt vmcnt(0) lgkmcnt(0)
	v_add_f64 v[13:14], v[9:10], v[13:14]
	v_add_f64 v[9:10], v[11:12], v[15:16]
	v_mul_f64 v[11:12], v[2:3], v[13:14]
	v_mul_f64 v[15:16], v[2:3], v[9:10]
	v_fma_f64 v[9:10], v[4:5], v[9:10], -v[11:12]
	v_fma_f64 v[11:12], v[13:14], -v[4:5], -v[15:16]
	global_store_dwordx4 v[17:18], v[9:12], off
.LBB56_27:
	s_mov_b64 s[8:9], 0
.LBB56_28:
	s_andn2_b64 vcc, exec, s[8:9]
	s_cbranch_vccnz .LBB56_33
; %bb.29:
	v_mov_b32_e32 v1, 0
	v_lshlrev_b64 v[9:10], 4, v[0:1]
	s_and_b64 vcc, exec, s[0:1]
	s_mov_b64 s[0:1], -1
	s_cbranch_vccnz .LBB56_31
; %bb.30:
	v_mad_u64_u32 v[11:12], s[0:1], v0, s3, 0
	s_ashr_i32 s0, s3, 31
	v_mov_b32_e32 v1, v12
	s_waitcnt vmcnt(0)
	v_mad_u64_u32 v[12:13], s[0:1], v0, s0, v[1:2]
	v_mov_b32_e32 v1, s15
	v_lshlrev_b64 v[11:12], 4, v[11:12]
	v_add_co_u32_e32 v11, vcc, s2, v11
	v_addc_co_u32_e32 v1, vcc, v1, v12, vcc
	v_add_co_u32_e32 v11, vcc, v11, v7
	v_addc_co_u32_e32 v12, vcc, v1, v8, vcc
	flat_load_dwordx4 v[11:14], v[11:12]
	s_waitcnt vmcnt(0) lgkmcnt(0)
	v_mul_f64 v[15:16], v[4:5], v[13:14]
	v_mul_f64 v[17:18], v[4:5], v[11:12]
	v_fma_f64 v[11:12], v[11:12], -v[2:3], -v[15:16]
	v_mad_u64_u32 v[15:16], s[0:1], v6, s16, 0
	s_ashr_i32 s0, s16, 31
	v_fma_f64 v[13:14], v[2:3], v[13:14], -v[17:18]
	v_mov_b32_e32 v1, v16
	v_mad_u64_u32 v[16:17], s[0:1], v6, s0, v[1:2]
	v_mov_b32_e32 v1, s18
	s_mov_b64 s[0:1], 0
	v_lshlrev_b64 v[15:16], 4, v[15:16]
	v_add_co_u32_e32 v15, vcc, s17, v15
	v_addc_co_u32_e32 v1, vcc, v1, v16, vcc
	v_add_co_u32_e32 v15, vcc, v15, v9
	v_addc_co_u32_e32 v16, vcc, v1, v10, vcc
	global_store_dwordx4 v[15:16], v[11:14], off
.LBB56_31:
	s_andn2_b64 vcc, exec, s[0:1]
	s_cbranch_vccnz .LBB56_33
; %bb.32:
	v_mad_u64_u32 v[11:12], s[0:1], v6, s16, 0
	s_ashr_i32 s0, s16, 31
	v_mov_b32_e32 v1, v12
	s_waitcnt vmcnt(0)
	v_mad_u64_u32 v[12:13], s[0:1], v6, s0, v[1:2]
	v_mad_u64_u32 v[13:14], s[0:1], v0, s3, 0
	v_lshlrev_b64 v[11:12], 4, v[11:12]
	v_mov_b32_e32 v1, s18
	v_add_co_u32_e32 v6, vcc, s17, v11
	v_addc_co_u32_e32 v11, vcc, v1, v12, vcc
	s_ashr_i32 s0, s3, 31
	v_mov_b32_e32 v1, v14
	v_mad_u64_u32 v[0:1], s[0:1], v0, s0, v[1:2]
	v_add_co_u32_e32 v15, vcc, v6, v9
	v_mov_b32_e32 v14, v0
	v_lshlrev_b64 v[0:1], 4, v[13:14]
	v_addc_co_u32_e32 v16, vcc, v11, v10, vcc
	v_mov_b32_e32 v6, s15
	v_add_co_u32_e32 v0, vcc, s2, v0
	v_addc_co_u32_e32 v1, vcc, v6, v1, vcc
	v_add_co_u32_e32 v0, vcc, v0, v7
	v_addc_co_u32_e32 v1, vcc, v1, v8, vcc
	flat_load_dwordx4 v[6:9], v[0:1]
	global_load_dwordx4 v[10:13], v[15:16], off
	s_waitcnt vmcnt(0) lgkmcnt(0)
	v_add_f64 v[6:7], v[6:7], v[10:11]
	v_add_f64 v[0:1], v[12:13], -v[8:9]
	v_mul_f64 v[8:9], v[2:3], v[6:7]
	v_mul_f64 v[2:3], v[2:3], v[0:1]
	v_fma_f64 v[0:1], v[4:5], v[0:1], -v[8:9]
	v_fma_f64 v[2:3], v[6:7], -v[4:5], -v[2:3]
	global_store_dwordx4 v[15:16], v[0:3], off
.LBB56_33:
	s_or_b64 exec, exec, s[4:5]
                                        ; implicit-def: $vgpr6
.LBB56_34:
	s_andn2_saveexec_b64 s[0:1], s[6:7]
	s_cbranch_execz .LBB56_36
; %bb.35:
	v_mov_b32_e32 v7, 0
	s_waitcnt vmcnt(0)
	v_lshlrev_b64 v[4:5], 4, v[6:7]
	v_mov_b32_e32 v1, s20
	v_add_co_u32_e32 v0, vcc, s19, v4
	v_addc_co_u32_e32 v1, vcc, v1, v5, vcc
	global_load_dwordx4 v[0:3], v[0:1], off
	v_mad_u64_u32 v[7:8], s[0:1], v6, s16, 0
	s_ashr_i32 s0, s16, 31
	v_mad_u64_u32 v[8:9], s[0:1], v6, s0, v[8:9]
	v_lshlrev_b64 v[6:7], 4, v[7:8]
	v_mov_b32_e32 v8, s18
	v_add_co_u32_e32 v6, vcc, s17, v6
	v_addc_co_u32_e32 v7, vcc, v8, v7, vcc
	v_add_co_u32_e32 v4, vcc, v6, v4
	v_addc_co_u32_e32 v5, vcc, v7, v5, vcc
	s_waitcnt vmcnt(0)
	global_store_dwordx4 v[4:5], v[0:3], off
.LBB56_36:
	s_endpgm
	.section	.rodata,"a",@progbits
	.p2align	6, 0x0
	.amdhsa_kernel _ZN9rocsolver6v33100L14set_triangularI19rocblas_complex_numIdEPKPS3_TnNSt9enable_ifIX18rocblas_is_complexIT_EEiE4typeELi0EEEviiT0_iilPS8_lSC_il15rocblas_direct_15rocblas_storev_b
		.amdhsa_group_segment_fixed_size 0
		.amdhsa_private_segment_fixed_size 0
		.amdhsa_kernarg_size 344
		.amdhsa_user_sgpr_count 6
		.amdhsa_user_sgpr_private_segment_buffer 1
		.amdhsa_user_sgpr_dispatch_ptr 0
		.amdhsa_user_sgpr_queue_ptr 0
		.amdhsa_user_sgpr_kernarg_segment_ptr 1
		.amdhsa_user_sgpr_dispatch_id 0
		.amdhsa_user_sgpr_flat_scratch_init 0
		.amdhsa_user_sgpr_private_segment_size 0
		.amdhsa_uses_dynamic_stack 0
		.amdhsa_system_sgpr_private_segment_wavefront_offset 0
		.amdhsa_system_sgpr_workgroup_id_x 1
		.amdhsa_system_sgpr_workgroup_id_y 1
		.amdhsa_system_sgpr_workgroup_id_z 1
		.amdhsa_system_sgpr_workgroup_info 0
		.amdhsa_system_vgpr_workitem_id 1
		.amdhsa_next_free_vgpr 21
		.amdhsa_next_free_sgpr 21
		.amdhsa_reserve_vcc 1
		.amdhsa_reserve_flat_scratch 0
		.amdhsa_float_round_mode_32 0
		.amdhsa_float_round_mode_16_64 0
		.amdhsa_float_denorm_mode_32 3
		.amdhsa_float_denorm_mode_16_64 3
		.amdhsa_dx10_clamp 1
		.amdhsa_ieee_mode 1
		.amdhsa_fp16_overflow 0
		.amdhsa_exception_fp_ieee_invalid_op 0
		.amdhsa_exception_fp_denorm_src 0
		.amdhsa_exception_fp_ieee_div_zero 0
		.amdhsa_exception_fp_ieee_overflow 0
		.amdhsa_exception_fp_ieee_underflow 0
		.amdhsa_exception_fp_ieee_inexact 0
		.amdhsa_exception_int_div_zero 0
	.end_amdhsa_kernel
	.section	.text._ZN9rocsolver6v33100L14set_triangularI19rocblas_complex_numIdEPKPS3_TnNSt9enable_ifIX18rocblas_is_complexIT_EEiE4typeELi0EEEviiT0_iilPS8_lSC_il15rocblas_direct_15rocblas_storev_b,"axG",@progbits,_ZN9rocsolver6v33100L14set_triangularI19rocblas_complex_numIdEPKPS3_TnNSt9enable_ifIX18rocblas_is_complexIT_EEiE4typeELi0EEEviiT0_iilPS8_lSC_il15rocblas_direct_15rocblas_storev_b,comdat
.Lfunc_end56:
	.size	_ZN9rocsolver6v33100L14set_triangularI19rocblas_complex_numIdEPKPS3_TnNSt9enable_ifIX18rocblas_is_complexIT_EEiE4typeELi0EEEviiT0_iilPS8_lSC_il15rocblas_direct_15rocblas_storev_b, .Lfunc_end56-_ZN9rocsolver6v33100L14set_triangularI19rocblas_complex_numIdEPKPS3_TnNSt9enable_ifIX18rocblas_is_complexIT_EEiE4typeELi0EEEviiT0_iilPS8_lSC_il15rocblas_direct_15rocblas_storev_b
                                        ; -- End function
	.set _ZN9rocsolver6v33100L14set_triangularI19rocblas_complex_numIdEPKPS3_TnNSt9enable_ifIX18rocblas_is_complexIT_EEiE4typeELi0EEEviiT0_iilPS8_lSC_il15rocblas_direct_15rocblas_storev_b.num_vgpr, 21
	.set _ZN9rocsolver6v33100L14set_triangularI19rocblas_complex_numIdEPKPS3_TnNSt9enable_ifIX18rocblas_is_complexIT_EEiE4typeELi0EEEviiT0_iilPS8_lSC_il15rocblas_direct_15rocblas_storev_b.num_agpr, 0
	.set _ZN9rocsolver6v33100L14set_triangularI19rocblas_complex_numIdEPKPS3_TnNSt9enable_ifIX18rocblas_is_complexIT_EEiE4typeELi0EEEviiT0_iilPS8_lSC_il15rocblas_direct_15rocblas_storev_b.numbered_sgpr, 21
	.set _ZN9rocsolver6v33100L14set_triangularI19rocblas_complex_numIdEPKPS3_TnNSt9enable_ifIX18rocblas_is_complexIT_EEiE4typeELi0EEEviiT0_iilPS8_lSC_il15rocblas_direct_15rocblas_storev_b.num_named_barrier, 0
	.set _ZN9rocsolver6v33100L14set_triangularI19rocblas_complex_numIdEPKPS3_TnNSt9enable_ifIX18rocblas_is_complexIT_EEiE4typeELi0EEEviiT0_iilPS8_lSC_il15rocblas_direct_15rocblas_storev_b.private_seg_size, 0
	.set _ZN9rocsolver6v33100L14set_triangularI19rocblas_complex_numIdEPKPS3_TnNSt9enable_ifIX18rocblas_is_complexIT_EEiE4typeELi0EEEviiT0_iilPS8_lSC_il15rocblas_direct_15rocblas_storev_b.uses_vcc, 1
	.set _ZN9rocsolver6v33100L14set_triangularI19rocblas_complex_numIdEPKPS3_TnNSt9enable_ifIX18rocblas_is_complexIT_EEiE4typeELi0EEEviiT0_iilPS8_lSC_il15rocblas_direct_15rocblas_storev_b.uses_flat_scratch, 0
	.set _ZN9rocsolver6v33100L14set_triangularI19rocblas_complex_numIdEPKPS3_TnNSt9enable_ifIX18rocblas_is_complexIT_EEiE4typeELi0EEEviiT0_iilPS8_lSC_il15rocblas_direct_15rocblas_storev_b.has_dyn_sized_stack, 0
	.set _ZN9rocsolver6v33100L14set_triangularI19rocblas_complex_numIdEPKPS3_TnNSt9enable_ifIX18rocblas_is_complexIT_EEiE4typeELi0EEEviiT0_iilPS8_lSC_il15rocblas_direct_15rocblas_storev_b.has_recursion, 0
	.set _ZN9rocsolver6v33100L14set_triangularI19rocblas_complex_numIdEPKPS3_TnNSt9enable_ifIX18rocblas_is_complexIT_EEiE4typeELi0EEEviiT0_iilPS8_lSC_il15rocblas_direct_15rocblas_storev_b.has_indirect_call, 0
	.section	.AMDGPU.csdata,"",@progbits
; Kernel info:
; codeLenInByte = 2348
; TotalNumSgprs: 25
; NumVgprs: 21
; ScratchSize: 0
; MemoryBound: 1
; FloatMode: 240
; IeeeMode: 1
; LDSByteSize: 0 bytes/workgroup (compile time only)
; SGPRBlocks: 3
; VGPRBlocks: 5
; NumSGPRsForWavesPerEU: 25
; NumVGPRsForWavesPerEU: 21
; Occupancy: 10
; WaveLimiterHint : 1
; COMPUTE_PGM_RSRC2:SCRATCH_EN: 0
; COMPUTE_PGM_RSRC2:USER_SGPR: 6
; COMPUTE_PGM_RSRC2:TRAP_HANDLER: 0
; COMPUTE_PGM_RSRC2:TGID_X_EN: 1
; COMPUTE_PGM_RSRC2:TGID_Y_EN: 1
; COMPUTE_PGM_RSRC2:TGID_Z_EN: 1
; COMPUTE_PGM_RSRC2:TIDIG_COMP_CNT: 1
	.section	.text._ZN9rocsolver6v33100L7set_tauI19rocblas_complex_numIdEEEviPT_l,"axG",@progbits,_ZN9rocsolver6v33100L7set_tauI19rocblas_complex_numIdEEEviPT_l,comdat
	.globl	_ZN9rocsolver6v33100L7set_tauI19rocblas_complex_numIdEEEviPT_l ; -- Begin function _ZN9rocsolver6v33100L7set_tauI19rocblas_complex_numIdEEEviPT_l
	.p2align	8
	.type	_ZN9rocsolver6v33100L7set_tauI19rocblas_complex_numIdEEEviPT_l,@function
_ZN9rocsolver6v33100L7set_tauI19rocblas_complex_numIdEEEviPT_l: ; @_ZN9rocsolver6v33100L7set_tauI19rocblas_complex_numIdEEEviPT_l
; %bb.0:
	s_load_dword s0, s[4:5], 0x24
	s_load_dword s1, s[4:5], 0x0
	s_waitcnt lgkmcnt(0)
	s_and_b32 s0, s0, 0xffff
	s_mul_i32 s6, s6, s0
	v_add_u32_e32 v0, s6, v0
	v_cmp_gt_u32_e32 vcc, s1, v0
	s_and_saveexec_b64 s[0:1], vcc
	s_cbranch_execz .LBB57_2
; %bb.1:
	s_load_dwordx4 s[0:3], s[4:5], 0x8
	v_mov_b32_e32 v1, 0
	v_lshlrev_b64 v[0:1], 4, v[0:1]
	s_waitcnt lgkmcnt(0)
	s_mul_i32 s3, s3, s7
	s_mul_hi_u32 s4, s2, s7
	s_mul_i32 s2, s2, s7
	s_add_i32 s3, s4, s3
	s_lshl_b64 s[2:3], s[2:3], 4
	s_add_u32 s0, s0, s2
	s_addc_u32 s1, s1, s3
	v_mov_b32_e32 v2, s1
	v_add_co_u32_e32 v4, vcc, s0, v0
	v_addc_co_u32_e32 v5, vcc, v2, v1, vcc
	global_load_dwordx4 v[0:3], v[4:5], off
	s_waitcnt vmcnt(0)
	v_xor_b32_e32 v1, 0x80000000, v1
	v_xor_b32_e32 v3, 0x80000000, v3
	global_store_dwordx4 v[4:5], v[0:3], off
.LBB57_2:
	s_endpgm
	.section	.rodata,"a",@progbits
	.p2align	6, 0x0
	.amdhsa_kernel _ZN9rocsolver6v33100L7set_tauI19rocblas_complex_numIdEEEviPT_l
		.amdhsa_group_segment_fixed_size 0
		.amdhsa_private_segment_fixed_size 0
		.amdhsa_kernarg_size 280
		.amdhsa_user_sgpr_count 6
		.amdhsa_user_sgpr_private_segment_buffer 1
		.amdhsa_user_sgpr_dispatch_ptr 0
		.amdhsa_user_sgpr_queue_ptr 0
		.amdhsa_user_sgpr_kernarg_segment_ptr 1
		.amdhsa_user_sgpr_dispatch_id 0
		.amdhsa_user_sgpr_flat_scratch_init 0
		.amdhsa_user_sgpr_private_segment_size 0
		.amdhsa_uses_dynamic_stack 0
		.amdhsa_system_sgpr_private_segment_wavefront_offset 0
		.amdhsa_system_sgpr_workgroup_id_x 1
		.amdhsa_system_sgpr_workgroup_id_y 1
		.amdhsa_system_sgpr_workgroup_id_z 0
		.amdhsa_system_sgpr_workgroup_info 0
		.amdhsa_system_vgpr_workitem_id 0
		.amdhsa_next_free_vgpr 6
		.amdhsa_next_free_sgpr 8
		.amdhsa_reserve_vcc 1
		.amdhsa_reserve_flat_scratch 0
		.amdhsa_float_round_mode_32 0
		.amdhsa_float_round_mode_16_64 0
		.amdhsa_float_denorm_mode_32 3
		.amdhsa_float_denorm_mode_16_64 3
		.amdhsa_dx10_clamp 1
		.amdhsa_ieee_mode 1
		.amdhsa_fp16_overflow 0
		.amdhsa_exception_fp_ieee_invalid_op 0
		.amdhsa_exception_fp_denorm_src 0
		.amdhsa_exception_fp_ieee_div_zero 0
		.amdhsa_exception_fp_ieee_overflow 0
		.amdhsa_exception_fp_ieee_underflow 0
		.amdhsa_exception_fp_ieee_inexact 0
		.amdhsa_exception_int_div_zero 0
	.end_amdhsa_kernel
	.section	.text._ZN9rocsolver6v33100L7set_tauI19rocblas_complex_numIdEEEviPT_l,"axG",@progbits,_ZN9rocsolver6v33100L7set_tauI19rocblas_complex_numIdEEEviPT_l,comdat
.Lfunc_end57:
	.size	_ZN9rocsolver6v33100L7set_tauI19rocblas_complex_numIdEEEviPT_l, .Lfunc_end57-_ZN9rocsolver6v33100L7set_tauI19rocblas_complex_numIdEEEviPT_l
                                        ; -- End function
	.set _ZN9rocsolver6v33100L7set_tauI19rocblas_complex_numIdEEEviPT_l.num_vgpr, 6
	.set _ZN9rocsolver6v33100L7set_tauI19rocblas_complex_numIdEEEviPT_l.num_agpr, 0
	.set _ZN9rocsolver6v33100L7set_tauI19rocblas_complex_numIdEEEviPT_l.numbered_sgpr, 8
	.set _ZN9rocsolver6v33100L7set_tauI19rocblas_complex_numIdEEEviPT_l.num_named_barrier, 0
	.set _ZN9rocsolver6v33100L7set_tauI19rocblas_complex_numIdEEEviPT_l.private_seg_size, 0
	.set _ZN9rocsolver6v33100L7set_tauI19rocblas_complex_numIdEEEviPT_l.uses_vcc, 1
	.set _ZN9rocsolver6v33100L7set_tauI19rocblas_complex_numIdEEEviPT_l.uses_flat_scratch, 0
	.set _ZN9rocsolver6v33100L7set_tauI19rocblas_complex_numIdEEEviPT_l.has_dyn_sized_stack, 0
	.set _ZN9rocsolver6v33100L7set_tauI19rocblas_complex_numIdEEEviPT_l.has_recursion, 0
	.set _ZN9rocsolver6v33100L7set_tauI19rocblas_complex_numIdEEEviPT_l.has_indirect_call, 0
	.section	.AMDGPU.csdata,"",@progbits
; Kernel info:
; codeLenInByte = 152
; TotalNumSgprs: 12
; NumVgprs: 6
; ScratchSize: 0
; MemoryBound: 0
; FloatMode: 240
; IeeeMode: 1
; LDSByteSize: 0 bytes/workgroup (compile time only)
; SGPRBlocks: 1
; VGPRBlocks: 1
; NumSGPRsForWavesPerEU: 12
; NumVGPRsForWavesPerEU: 6
; Occupancy: 10
; WaveLimiterHint : 0
; COMPUTE_PGM_RSRC2:SCRATCH_EN: 0
; COMPUTE_PGM_RSRC2:USER_SGPR: 6
; COMPUTE_PGM_RSRC2:TRAP_HANDLER: 0
; COMPUTE_PGM_RSRC2:TGID_X_EN: 1
; COMPUTE_PGM_RSRC2:TGID_Y_EN: 1
; COMPUTE_PGM_RSRC2:TGID_Z_EN: 0
; COMPUTE_PGM_RSRC2:TIDIG_COMP_CNT: 0
	.section	.text._ZN9rocsolver6v33100L20larft_kernel_forwardI19rocblas_complex_numIdEPKPS3_EEv15rocblas_storev_iiT0_iilPT_lSA_il,"axG",@progbits,_ZN9rocsolver6v33100L20larft_kernel_forwardI19rocblas_complex_numIdEPKPS3_EEv15rocblas_storev_iiT0_iilPT_lSA_il,comdat
	.globl	_ZN9rocsolver6v33100L20larft_kernel_forwardI19rocblas_complex_numIdEPKPS3_EEv15rocblas_storev_iiT0_iilPT_lSA_il ; -- Begin function _ZN9rocsolver6v33100L20larft_kernel_forwardI19rocblas_complex_numIdEPKPS3_EEv15rocblas_storev_iiT0_iilPT_lSA_il
	.p2align	8
	.type	_ZN9rocsolver6v33100L20larft_kernel_forwardI19rocblas_complex_numIdEPKPS3_EEv15rocblas_storev_iiT0_iilPT_lSA_il,@function
_ZN9rocsolver6v33100L20larft_kernel_forwardI19rocblas_complex_numIdEPKPS3_EEv15rocblas_storev_iiT0_iilPT_lSA_il: ; @_ZN9rocsolver6v33100L20larft_kernel_forwardI19rocblas_complex_numIdEPKPS3_EEv15rocblas_storev_iiT0_iilPT_lSA_il
; %bb.0:
	s_mov_b32 s2, s7
	s_load_dword s33, s[4:5], 0x40
	s_load_dwordx2 s[0:1], s[4:5], 0x48
	s_load_dword s3, s[4:5], 0x5c
	s_load_dwordx4 s[8:11], s[4:5], 0x0
	s_load_dwordx2 s[6:7], s[4:5], 0x10
	s_load_dwordx4 s[12:15], s[4:5], 0x28
	s_load_dwordx2 s[18:19], s[4:5], 0x38
	s_waitcnt lgkmcnt(0)
	s_and_b32 s11, s3, 0xffff
	s_ashr_i32 s3, s2, 31
	s_lshl_b64 s[16:17], s[2:3], 3
	s_add_u32 s6, s6, s16
	s_addc_u32 s7, s7, s17
	s_load_dwordx2 s[16:17], s[6:7], 0x0
	s_mul_hi_u32 s6, s0, s2
	s_mul_i32 s7, s0, s3
	s_add_i32 s6, s6, s7
	s_mul_i32 s1, s1, s2
	s_add_i32 s1, s6, s1
	s_mul_i32 s0, s0, s2
	s_lshl_b64 s[0:1], s[0:1], 4
	s_add_u32 s40, s18, s0
	s_addc_u32 s41, s19, s1
	v_cmp_gt_i32_e64 s[0:1], s10, v0
	v_lshlrev_b32_e32 v10, 4, v0
	s_and_saveexec_b64 s[6:7], s[0:1]
	s_cbranch_execz .LBB58_5
; %bb.1:
	v_add_u32_e32 v1, 16, v10
	v_mul_lo_u32 v1, s10, v1
	s_lshl_b32 s22, s10, 4
	s_add_i32 s23, s22, 16
	s_add_i32 s24, s33, 1
	v_add3_u32 v4, v1, v10, 0
	v_mad_u64_u32 v[1:2], s[18:19], v0, s33, v[0:1]
	s_mul_i32 s23, s23, s11
	s_mul_i32 s24, s24, s11
	s_mov_b64 s[18:19], 0
	v_mov_b32_e32 v5, s41
	v_mov_b32_e32 v6, v0
.LBB58_2:                               ; =>This Loop Header: Depth=1
                                        ;     Child Loop BB58_3 Depth 2
	s_mov_b64 s[20:21], 0
	v_mov_b32_e32 v2, v1
	v_mov_b32_e32 v7, v4
	;; [unrolled: 1-line block ×3, first 2 shown]
.LBB58_3:                               ;   Parent Loop BB58_2 Depth=1
                                        ; =>  This Inner Loop Header: Depth=2
	v_ashrrev_i32_e32 v3, 31, v2
	v_lshlrev_b64 v[11:12], 4, v[2:3]
	v_add_u32_e32 v8, 1, v8
	v_add_co_u32_e32 v11, vcc, s40, v11
	v_addc_co_u32_e32 v12, vcc, v5, v12, vcc
	global_load_dwordx4 v[11:14], v[11:12], off
	v_cmp_le_i32_e32 vcc, s10, v8
	v_add_u32_e32 v2, s33, v2
	s_or_b64 s[20:21], vcc, s[20:21]
	s_waitcnt vmcnt(0)
	ds_write2_b64 v7, v[11:12], v[13:14] offset1:1
	v_add_u32_e32 v7, s22, v7
	s_andn2_b64 exec, exec, s[20:21]
	s_cbranch_execnz .LBB58_3
; %bb.4:                                ;   in Loop: Header=BB58_2 Depth=1
	s_or_b64 exec, exec, s[20:21]
	v_add_u32_e32 v6, s11, v6
	v_cmp_le_i32_e32 vcc, s10, v6
	v_add_u32_e32 v4, s23, v4
	s_or_b64 s[18:19], vcc, s[18:19]
	v_add_u32_e32 v1, s24, v1
	s_andn2_b64 exec, exec, s[18:19]
	s_cbranch_execnz .LBB58_2
.LBB58_5:
	s_or_b64 exec, exec, s[6:7]
	s_cmp_lt_i32 s10, 2
	s_waitcnt lgkmcnt(0)
	s_barrier
	s_cbranch_scc1 .LBB58_31
; %bb.6:
	s_load_dwordx2 s[18:19], s[4:5], 0x18
	s_mul_i32 s3, s14, s3
	s_mul_hi_u32 s6, s14, s2
	v_add_u32_e32 v1, 16, v10
	v_mul_lo_u32 v3, s10, v1
	s_waitcnt lgkmcnt(0)
	s_ashr_i32 s5, s18, 31
	s_mov_b32 s4, s18
	s_lshl_b64 s[20:21], s[4:5], 4
	s_add_u32 s22, s16, s20
	s_addc_u32 s23, s17, s21
	s_add_i32 s3, s6, s3
	s_mul_i32 s4, s15, s2
	s_add_i32 s3, s3, s4
	s_mul_i32 s2, s14, s2
	s_lshl_b64 s[2:3], s[2:3], 4
	s_add_u32 s18, s12, s2
	s_addc_u32 s42, s13, s3
	s_lshl_b32 s43, s10, 4
	s_add_i32 s44, s43, 0
	s_cmpk_lg_i32 s8, 0xb5
	s_cselect_b64 s[14:15], -1, 0
	s_ashr_i32 s3, s19, 31
	s_mov_b32 s2, s19
	v_mov_b32_e32 v2, s21
	v_add_co_u32_e32 v1, vcc, s20, v10
	s_add_i32 s47, s43, 16
	s_mov_b32 s13, 0
	s_add_i32 s8, s9, -2
	s_mov_b32 s12, 1
	s_lshl_b32 s24, s19, 1
	s_lshl_b64 s[26:27], s[2:3], 4
	v_addc_co_u32_e32 v2, vcc, 0, v2, vcc
	s_lshl_b32 s45, s11, 4
	s_mul_i32 s46, s19, s11
	v_add3_u32 v11, v3, v10, 0
	s_mul_i32 s47, s47, s11
	v_add_u32_e32 v12, 0, v10
	s_mov_b32 s28, s19
	s_branch .LBB58_8
.LBB58_7:                               ;   in Loop: Header=BB58_8 Depth=1
	s_or_b64 exec, exec, s[2:3]
	s_add_i32 s12, s12, 1
	s_add_i32 s8, s8, -1
	s_add_u32 s20, s20, 16
	s_addc_u32 s21, s21, 0
	s_add_i32 s24, s24, s19
	s_add_u32 s22, s22, 16
	s_addc_u32 s23, s23, 0
	s_add_i32 s28, s28, s19
	s_cmp_eq_u32 s12, s10
	s_waitcnt lgkmcnt(0)
	s_barrier
	s_cbranch_scc1 .LBB58_31
.LBB58_8:                               ; =>This Loop Header: Depth=1
                                        ;     Child Loop BB58_13 Depth 2
                                        ;       Child Loop BB58_15 Depth 3
                                        ;     Child Loop BB58_22 Depth 2
                                        ;       Child Loop BB58_24 Depth 3
	;; [unrolled: 2-line block ×3, first 2 shown]
	s_not_b32 s2, s12
	s_add_i32 s49, s9, s2
	s_mul_i32 s2, s12, s10
	s_lshl_b32 s2, s2, 4
	s_add_i32 s48, s44, s2
	s_mov_b64 s[4:5], -1
	s_and_b64 vcc, exec, s[14:15]
	v_cmp_gt_u32_e64 s[2:3], s12, v0
	s_cbranch_vccz .LBB58_17
; %bb.9:                                ;   in Loop: Header=BB58_8 Depth=1
	s_and_saveexec_b64 s[30:31], s[2:3]
	s_cbranch_execz .LBB58_16
; %bb.10:                               ;   in Loop: Header=BB58_8 Depth=1
	s_ashr_i32 s25, s24, 31
	s_lshl_b64 s[2:3], s[24:25], 4
	s_add_u32 s34, s16, s2
	s_addc_u32 s35, s17, s3
	s_cmp_gt_i32 s49, 0
	s_cselect_b64 s[2:3], -1, 0
	s_lshl_b64 s[4:5], s[12:13], 4
	s_add_u32 s36, s18, s4
	s_addc_u32 s37, s42, s5
	s_load_dwordx4 s[4:7], s[36:37], 0x0
	v_cndmask_b32_e64 v3, 0, 1, s[2:3]
	v_cmp_ne_u32_e64 s[2:3], 1, v3
	v_mov_b32_e32 v4, v2
	s_mov_b64 s[36:37], 0
	v_mov_b32_e32 v3, v1
	v_mov_b32_e32 v9, v0
	s_branch .LBB58_13
.LBB58_11:                              ;   in Loop: Header=BB58_13 Depth=2
	v_mov_b32_e32 v7, 0
	v_mov_b32_e32 v8, 0
.LBB58_12:                              ;   in Loop: Header=BB58_13 Depth=2
	s_waitcnt lgkmcnt(0)
	v_mul_f64 v[13:14], v[5:6], s[6:7]
	v_mul_f64 v[15:16], v[7:8], s[6:7]
	v_lshlrev_b32_e32 v17, 4, v9
	v_add_u32_e32 v9, s11, v9
	v_cmp_le_u32_e32 vcc, s12, v9
	s_or_b64 s[36:37], vcc, s[36:37]
	v_add_co_u32_e32 v3, vcc, s45, v3
	v_fma_f64 v[13:14], v[7:8], s[4:5], -v[13:14]
	v_fma_f64 v[15:16], v[5:6], s[4:5], v[15:16]
	v_add_u32_e32 v5, s48, v17
	ds_read2_b64 v[5:8], v5 offset1:1
	v_addc_co_u32_e32 v4, vcc, 0, v4, vcc
	s_waitcnt lgkmcnt(0)
	v_add_f64 v[5:6], v[5:6], v[13:14]
	v_add_f64 v[7:8], v[7:8], v[15:16]
	v_add_u32_e32 v13, 0, v17
	ds_write2_b64 v13, v[5:6], v[7:8] offset1:1
	s_andn2_b64 exec, exec, s[36:37]
	s_cbranch_execz .LBB58_16
.LBB58_13:                              ;   Parent Loop BB58_8 Depth=1
                                        ; =>  This Loop Header: Depth=2
                                        ;       Child Loop BB58_15 Depth 3
	v_mov_b32_e32 v5, 0
	v_mov_b32_e32 v6, 0
	s_and_b64 vcc, exec, s[2:3]
	s_cbranch_vccnz .LBB58_11
; %bb.14:                               ;   in Loop: Header=BB58_13 Depth=2
	v_mov_b32_e32 v7, 0
	s_mov_b32 s25, 0
	v_mov_b32_e32 v8, 0
	s_mov_b64 s[38:39], s[34:35]
.LBB58_15:                              ;   Parent Loop BB58_8 Depth=1
                                        ;     Parent Loop BB58_13 Depth=2
                                        ; =>    This Inner Loop Header: Depth=3
	v_mov_b32_e32 v13, s39
	s_add_u32 s50, s38, s20
	v_add_co_u32_e32 v17, vcc, s38, v3
	v_addc_co_u32_e32 v18, vcc, v13, v4, vcc
	s_addc_u32 s51, s39, s21
	v_mov_b32_e32 v13, s50
	v_mov_b32_e32 v14, s51
	flat_load_dwordx4 v[13:16], v[13:14] offset:16
	s_nop 0
	flat_load_dwordx4 v[17:20], v[17:18]
	s_add_i32 s25, s25, 1
	s_add_u32 s38, s38, s26
	s_addc_u32 s39, s39, s27
	s_cmp_eq_u32 s8, s25
	s_waitcnt vmcnt(0) lgkmcnt(0)
	v_mul_f64 v[21:22], v[15:16], v[19:20]
	v_mul_f64 v[15:16], v[15:16], v[17:18]
	v_fma_f64 v[17:18], v[13:14], v[17:18], v[21:22]
	v_fma_f64 v[13:14], v[13:14], v[19:20], -v[15:16]
	v_add_f64 v[7:8], v[7:8], v[17:18]
	v_add_f64 v[5:6], v[5:6], v[13:14]
	s_cbranch_scc0 .LBB58_15
	s_branch .LBB58_12
.LBB58_16:                              ;   in Loop: Header=BB58_8 Depth=1
	s_or_b64 exec, exec, s[30:31]
	s_mov_b64 s[4:5], 0
.LBB58_17:                              ;   in Loop: Header=BB58_8 Depth=1
	s_andn2_b64 vcc, exec, s[4:5]
	s_cbranch_vccnz .LBB58_26
; %bb.18:                               ;   in Loop: Header=BB58_8 Depth=1
	v_cmp_gt_u32_e32 vcc, s12, v0
	s_and_saveexec_b64 s[2:3], vcc
	s_cbranch_execz .LBB58_25
; %bb.19:                               ;   in Loop: Header=BB58_8 Depth=1
	s_ashr_i32 s29, s28, 31
	s_lshl_b64 s[30:31], s[28:29], 4
	s_cmp_gt_i32 s49, 0
	s_cselect_b64 s[34:35], -1, 0
	s_lshl_b64 s[4:5], s[12:13], 4
	s_add_u32 s36, s18, s4
	s_addc_u32 s37, s42, s5
	s_load_dwordx4 s[4:7], s[36:37], 0x0
	v_mul_lo_u32 v3, v0, s19
	s_mov_b64 s[36:37], 0
	v_mov_b32_e32 v13, v0
	s_branch .LBB58_22
.LBB58_20:                              ;   in Loop: Header=BB58_22 Depth=2
	v_mov_b32_e32 v4, 0
	v_mov_b32_e32 v6, 0
	;; [unrolled: 1-line block ×4, first 2 shown]
.LBB58_21:                              ;   in Loop: Header=BB58_22 Depth=2
	s_waitcnt lgkmcnt(0)
	v_mul_f64 v[8:9], v[4:5], s[6:7]
	v_mul_f64 v[14:15], v[6:7], s[6:7]
	v_lshlrev_b32_e32 v16, 4, v13
	v_add_u32_e32 v13, s11, v13
	v_cmp_le_u32_e32 vcc, s12, v13
	s_or_b64 s[36:37], vcc, s[36:37]
	v_add_u32_e32 v3, s46, v3
	v_fma_f64 v[8:9], v[6:7], s[4:5], -v[8:9]
	v_fma_f64 v[14:15], v[4:5], s[4:5], v[14:15]
	v_add_u32_e32 v4, s48, v16
	ds_read2_b64 v[4:7], v4 offset1:1
	s_waitcnt lgkmcnt(0)
	v_add_f64 v[4:5], v[4:5], v[8:9]
	v_add_f64 v[6:7], v[6:7], v[14:15]
	v_add_u32_e32 v8, 0, v16
	ds_write2_b64 v8, v[4:5], v[6:7] offset1:1
	s_andn2_b64 exec, exec, s[36:37]
	s_cbranch_execz .LBB58_25
.LBB58_22:                              ;   Parent Loop BB58_8 Depth=1
                                        ; =>  This Loop Header: Depth=2
                                        ;       Child Loop BB58_24 Depth 3
	s_andn2_b64 vcc, exec, s[34:35]
	s_cbranch_vccnz .LBB58_20
; %bb.23:                               ;   in Loop: Header=BB58_22 Depth=2
	v_ashrrev_i32_e32 v4, 31, v3
	v_lshlrev_b64 v[8:9], 4, v[3:4]
	v_mov_b32_e32 v4, 0
	v_mov_b32_e32 v6, 0
	;; [unrolled: 1-line block ×3, first 2 shown]
	s_mov_b32 s25, 0
	v_mov_b32_e32 v7, 0
	s_mov_b64 s[38:39], s[22:23]
.LBB58_24:                              ;   Parent Loop BB58_8 Depth=1
                                        ;     Parent Loop BB58_22 Depth=2
                                        ; =>    This Inner Loop Header: Depth=3
	v_mov_b32_e32 v14, s39
	s_add_u32 s50, s38, s30
	v_add_co_u32_e32 v22, vcc, s38, v8
	v_addc_co_u32_e32 v23, vcc, v14, v9, vcc
	s_addc_u32 s51, s39, s31
	v_mov_b32_e32 v24, s50
	v_mov_b32_e32 v25, s51
	flat_load_dwordx4 v[14:17], v[22:23] offset:32
	flat_load_dwordx4 v[18:21], v[24:25] offset:32
	s_add_i32 s25, s25, 1
	s_add_u32 s38, s38, 16
	s_addc_u32 s39, s39, 0
	s_cmp_eq_u32 s8, s25
	s_waitcnt vmcnt(0) lgkmcnt(0)
	v_mul_f64 v[22:23], v[16:17], v[20:21]
	v_mul_f64 v[16:17], v[16:17], v[18:19]
	v_fma_f64 v[18:19], v[14:15], v[18:19], v[22:23]
	v_fma_f64 v[14:15], v[14:15], v[20:21], -v[16:17]
	v_add_f64 v[6:7], v[6:7], v[18:19]
	v_add_f64 v[4:5], v[4:5], v[14:15]
	s_cbranch_scc0 .LBB58_24
	s_branch .LBB58_21
.LBB58_25:                              ;   in Loop: Header=BB58_8 Depth=1
	s_or_b64 exec, exec, s[2:3]
.LBB58_26:                              ;   in Loop: Header=BB58_8 Depth=1
	v_cmp_gt_u32_e32 vcc, s12, v0
	s_waitcnt lgkmcnt(0)
	s_barrier
	s_and_saveexec_b64 s[2:3], vcc
	s_cbranch_execz .LBB58_7
; %bb.27:                               ;   in Loop: Header=BB58_8 Depth=1
	s_mov_b64 s[4:5], 0
	v_mov_b32_e32 v7, v12
	v_mov_b32_e32 v8, v11
	;; [unrolled: 1-line block ×3, first 2 shown]
.LBB58_28:                              ;   Parent Loop BB58_8 Depth=1
                                        ; =>  This Loop Header: Depth=2
                                        ;       Child Loop BB58_29 Depth 3
	v_mov_b32_e32 v3, 0
	v_mov_b32_e32 v5, 0
	;; [unrolled: 1-line block ×3, first 2 shown]
	s_mov_b64 s[6:7], 0
	v_mov_b32_e32 v13, v7
	v_mov_b32_e32 v14, v8
	v_mov_b32_e32 v6, 0
	v_mov_b32_e32 v15, v9
.LBB58_29:                              ;   Parent Loop BB58_8 Depth=1
                                        ;     Parent Loop BB58_28 Depth=2
                                        ; =>    This Inner Loop Header: Depth=3
	ds_read2_b64 v[16:19], v13 offset1:1
	ds_read2_b64 v[20:23], v14 offset1:1
	v_add_u32_e32 v15, 1, v15
	v_cmp_le_u32_e32 vcc, s12, v15
	v_add_u32_e32 v14, s43, v14
	s_or_b64 s[6:7], vcc, s[6:7]
	s_waitcnt lgkmcnt(0)
	v_mul_f64 v[24:25], v[18:19], v[22:23]
	v_mul_f64 v[22:23], v[16:17], v[22:23]
	v_add_u32_e32 v13, 16, v13
	v_fma_f64 v[16:17], v[16:17], v[20:21], -v[24:25]
	v_fma_f64 v[18:19], v[18:19], v[20:21], v[22:23]
	v_add_f64 v[3:4], v[3:4], v[16:17]
	v_add_f64 v[5:6], v[5:6], v[18:19]
	s_andn2_b64 exec, exec, s[6:7]
	s_cbranch_execnz .LBB58_29
; %bb.30:                               ;   in Loop: Header=BB58_28 Depth=2
	s_or_b64 exec, exec, s[6:7]
	v_lshl_add_u32 v13, v9, 4, s48
	v_add_u32_e32 v9, s11, v9
	v_cmp_le_u32_e32 vcc, s12, v9
	v_add_u32_e32 v8, s47, v8
	s_or_b64 s[4:5], vcc, s[4:5]
	v_add_u32_e32 v7, s45, v7
	ds_write2_b64 v13, v[3:4], v[5:6] offset1:1
	s_andn2_b64 exec, exec, s[4:5]
	s_cbranch_execnz .LBB58_28
	s_branch .LBB58_7
.LBB58_31:
	s_and_saveexec_b64 s[2:3], s[0:1]
	s_cbranch_execz .LBB58_36
; %bb.32:
	v_add_u32_e32 v1, 16, v10
	v_mul_lo_u32 v3, s10, v1
	v_mad_u64_u32 v[1:2], s[0:1], v0, s33, v[0:1]
	s_lshl_b32 s5, s10, 4
	s_add_i32 s4, s33, 1
	s_add_i32 s6, s5, 16
	s_mul_i32 s4, s4, s11
	v_add3_u32 v4, v3, v10, 0
	s_mul_i32 s6, s6, s11
	s_mov_b64 s[0:1], 0
	v_mov_b32_e32 v5, s41
.LBB58_33:                              ; =>This Loop Header: Depth=1
                                        ;     Child Loop BB58_34 Depth 2
	s_mov_b64 s[2:3], 0
	v_mov_b32_e32 v6, v4
	v_mov_b32_e32 v2, v1
	;; [unrolled: 1-line block ×3, first 2 shown]
.LBB58_34:                              ;   Parent Loop BB58_33 Depth=1
                                        ; =>  This Inner Loop Header: Depth=2
	v_ashrrev_i32_e32 v3, 31, v2
	ds_read2_b64 v[8:11], v6 offset1:1
	v_add_u32_e32 v7, 1, v7
	v_lshlrev_b64 v[12:13], 4, v[2:3]
	v_cmp_le_i32_e32 vcc, s10, v7
	s_or_b64 s[2:3], vcc, s[2:3]
	v_add_co_u32_e32 v12, vcc, s40, v12
	v_add_u32_e32 v6, s5, v6
	v_add_u32_e32 v2, s33, v2
	v_addc_co_u32_e32 v13, vcc, v5, v13, vcc
	s_waitcnt lgkmcnt(0)
	global_store_dwordx4 v[12:13], v[8:11], off
	s_andn2_b64 exec, exec, s[2:3]
	s_cbranch_execnz .LBB58_34
; %bb.35:                               ;   in Loop: Header=BB58_33 Depth=1
	s_or_b64 exec, exec, s[2:3]
	v_add_u32_e32 v0, s11, v0
	v_cmp_le_i32_e32 vcc, s10, v0
	v_add_u32_e32 v1, s4, v1
	s_or_b64 s[0:1], vcc, s[0:1]
	v_add_u32_e32 v4, s6, v4
	s_andn2_b64 exec, exec, s[0:1]
	s_cbranch_execnz .LBB58_33
.LBB58_36:
	s_endpgm
	.section	.rodata,"a",@progbits
	.p2align	6, 0x0
	.amdhsa_kernel _ZN9rocsolver6v33100L20larft_kernel_forwardI19rocblas_complex_numIdEPKPS3_EEv15rocblas_storev_iiT0_iilPT_lSA_il
		.amdhsa_group_segment_fixed_size 0
		.amdhsa_private_segment_fixed_size 0
		.amdhsa_kernarg_size 336
		.amdhsa_user_sgpr_count 6
		.amdhsa_user_sgpr_private_segment_buffer 1
		.amdhsa_user_sgpr_dispatch_ptr 0
		.amdhsa_user_sgpr_queue_ptr 0
		.amdhsa_user_sgpr_kernarg_segment_ptr 1
		.amdhsa_user_sgpr_dispatch_id 0
		.amdhsa_user_sgpr_flat_scratch_init 0
		.amdhsa_user_sgpr_private_segment_size 0
		.amdhsa_uses_dynamic_stack 0
		.amdhsa_system_sgpr_private_segment_wavefront_offset 0
		.amdhsa_system_sgpr_workgroup_id_x 1
		.amdhsa_system_sgpr_workgroup_id_y 1
		.amdhsa_system_sgpr_workgroup_id_z 0
		.amdhsa_system_sgpr_workgroup_info 0
		.amdhsa_system_vgpr_workitem_id 0
		.amdhsa_next_free_vgpr 26
		.amdhsa_next_free_sgpr 52
		.amdhsa_reserve_vcc 1
		.amdhsa_reserve_flat_scratch 0
		.amdhsa_float_round_mode_32 0
		.amdhsa_float_round_mode_16_64 0
		.amdhsa_float_denorm_mode_32 3
		.amdhsa_float_denorm_mode_16_64 3
		.amdhsa_dx10_clamp 1
		.amdhsa_ieee_mode 1
		.amdhsa_fp16_overflow 0
		.amdhsa_exception_fp_ieee_invalid_op 0
		.amdhsa_exception_fp_denorm_src 0
		.amdhsa_exception_fp_ieee_div_zero 0
		.amdhsa_exception_fp_ieee_overflow 0
		.amdhsa_exception_fp_ieee_underflow 0
		.amdhsa_exception_fp_ieee_inexact 0
		.amdhsa_exception_int_div_zero 0
	.end_amdhsa_kernel
	.section	.text._ZN9rocsolver6v33100L20larft_kernel_forwardI19rocblas_complex_numIdEPKPS3_EEv15rocblas_storev_iiT0_iilPT_lSA_il,"axG",@progbits,_ZN9rocsolver6v33100L20larft_kernel_forwardI19rocblas_complex_numIdEPKPS3_EEv15rocblas_storev_iiT0_iilPT_lSA_il,comdat
.Lfunc_end58:
	.size	_ZN9rocsolver6v33100L20larft_kernel_forwardI19rocblas_complex_numIdEPKPS3_EEv15rocblas_storev_iiT0_iilPT_lSA_il, .Lfunc_end58-_ZN9rocsolver6v33100L20larft_kernel_forwardI19rocblas_complex_numIdEPKPS3_EEv15rocblas_storev_iiT0_iilPT_lSA_il
                                        ; -- End function
	.set _ZN9rocsolver6v33100L20larft_kernel_forwardI19rocblas_complex_numIdEPKPS3_EEv15rocblas_storev_iiT0_iilPT_lSA_il.num_vgpr, 26
	.set _ZN9rocsolver6v33100L20larft_kernel_forwardI19rocblas_complex_numIdEPKPS3_EEv15rocblas_storev_iiT0_iilPT_lSA_il.num_agpr, 0
	.set _ZN9rocsolver6v33100L20larft_kernel_forwardI19rocblas_complex_numIdEPKPS3_EEv15rocblas_storev_iiT0_iilPT_lSA_il.numbered_sgpr, 52
	.set _ZN9rocsolver6v33100L20larft_kernel_forwardI19rocblas_complex_numIdEPKPS3_EEv15rocblas_storev_iiT0_iilPT_lSA_il.num_named_barrier, 0
	.set _ZN9rocsolver6v33100L20larft_kernel_forwardI19rocblas_complex_numIdEPKPS3_EEv15rocblas_storev_iiT0_iilPT_lSA_il.private_seg_size, 0
	.set _ZN9rocsolver6v33100L20larft_kernel_forwardI19rocblas_complex_numIdEPKPS3_EEv15rocblas_storev_iiT0_iilPT_lSA_il.uses_vcc, 1
	.set _ZN9rocsolver6v33100L20larft_kernel_forwardI19rocblas_complex_numIdEPKPS3_EEv15rocblas_storev_iiT0_iilPT_lSA_il.uses_flat_scratch, 0
	.set _ZN9rocsolver6v33100L20larft_kernel_forwardI19rocblas_complex_numIdEPKPS3_EEv15rocblas_storev_iiT0_iilPT_lSA_il.has_dyn_sized_stack, 0
	.set _ZN9rocsolver6v33100L20larft_kernel_forwardI19rocblas_complex_numIdEPKPS3_EEv15rocblas_storev_iiT0_iilPT_lSA_il.has_recursion, 0
	.set _ZN9rocsolver6v33100L20larft_kernel_forwardI19rocblas_complex_numIdEPKPS3_EEv15rocblas_storev_iiT0_iilPT_lSA_il.has_indirect_call, 0
	.section	.AMDGPU.csdata,"",@progbits
; Kernel info:
; codeLenInByte = 1752
; TotalNumSgprs: 56
; NumVgprs: 26
; ScratchSize: 0
; MemoryBound: 0
; FloatMode: 240
; IeeeMode: 1
; LDSByteSize: 0 bytes/workgroup (compile time only)
; SGPRBlocks: 6
; VGPRBlocks: 6
; NumSGPRsForWavesPerEU: 56
; NumVGPRsForWavesPerEU: 26
; Occupancy: 9
; WaveLimiterHint : 0
; COMPUTE_PGM_RSRC2:SCRATCH_EN: 0
; COMPUTE_PGM_RSRC2:USER_SGPR: 6
; COMPUTE_PGM_RSRC2:TRAP_HANDLER: 0
; COMPUTE_PGM_RSRC2:TGID_X_EN: 1
; COMPUTE_PGM_RSRC2:TGID_Y_EN: 1
; COMPUTE_PGM_RSRC2:TGID_Z_EN: 0
; COMPUTE_PGM_RSRC2:TIDIG_COMP_CNT: 0
	.section	.text._ZN9rocsolver6v33100L21larft_kernel_backwardI19rocblas_complex_numIdEPKPS3_EEv15rocblas_storev_iiT0_iilPT_lSA_il,"axG",@progbits,_ZN9rocsolver6v33100L21larft_kernel_backwardI19rocblas_complex_numIdEPKPS3_EEv15rocblas_storev_iiT0_iilPT_lSA_il,comdat
	.globl	_ZN9rocsolver6v33100L21larft_kernel_backwardI19rocblas_complex_numIdEPKPS3_EEv15rocblas_storev_iiT0_iilPT_lSA_il ; -- Begin function _ZN9rocsolver6v33100L21larft_kernel_backwardI19rocblas_complex_numIdEPKPS3_EEv15rocblas_storev_iiT0_iilPT_lSA_il
	.p2align	8
	.type	_ZN9rocsolver6v33100L21larft_kernel_backwardI19rocblas_complex_numIdEPKPS3_EEv15rocblas_storev_iiT0_iilPT_lSA_il,@function
_ZN9rocsolver6v33100L21larft_kernel_backwardI19rocblas_complex_numIdEPKPS3_EEv15rocblas_storev_iiT0_iilPT_lSA_il: ; @_ZN9rocsolver6v33100L21larft_kernel_backwardI19rocblas_complex_numIdEPKPS3_EEv15rocblas_storev_iiT0_iilPT_lSA_il
; %bb.0:
	s_mov_b32 s6, s7
	s_load_dword s30, s[4:5], 0x40
	s_load_dwordx2 s[0:1], s[4:5], 0x48
	s_load_dword s7, s[4:5], 0x5c
	s_load_dwordx4 s[8:11], s[4:5], 0x0
	s_load_dwordx2 s[2:3], s[4:5], 0x10
	s_load_dwordx4 s[12:15], s[4:5], 0x28
	s_load_dwordx2 s[16:17], s[4:5], 0x38
	s_waitcnt lgkmcnt(0)
	s_and_b32 s11, s7, 0xffff
	s_ashr_i32 s7, s6, 31
	s_lshl_b64 s[18:19], s[6:7], 3
	s_add_u32 s2, s2, s18
	s_addc_u32 s3, s3, s19
	s_mul_hi_u32 s18, s0, s6
	s_mul_i32 s19, s0, s7
	s_load_dwordx2 s[2:3], s[2:3], 0x0
	s_add_i32 s18, s18, s19
	s_mul_i32 s1, s1, s6
	s_add_i32 s1, s18, s1
	s_mul_i32 s0, s0, s6
	s_lshl_b64 s[0:1], s[0:1], 4
	s_add_u32 s31, s16, s0
	s_addc_u32 s33, s17, s1
	v_cmp_gt_i32_e64 s[0:1], s10, v0
	v_add_u32_e32 v10, 1, v0
	s_and_saveexec_b64 s[16:17], s[0:1]
	s_cbranch_execz .LBB59_5
; %bb.1:
	s_lshl_b32 s22, s10, 4
	s_add_i32 s18, s22, 0
	v_add_u32_e32 v3, 1, v0
	v_lshl_add_u32 v4, v0, 4, s18
	s_lshl_b32 s23, s11, 4
	s_mov_b64 s[18:19], 0
	v_mov_b32_e32 v5, s33
	v_mov_b32_e32 v6, v0
.LBB59_2:                               ; =>This Loop Header: Depth=1
                                        ;     Child Loop BB59_3 Depth 2
	s_mov_b64 s[20:21], 0
	v_mov_b32_e32 v1, v6
	v_mov_b32_e32 v7, v4
	s_mov_b32 s24, 0
.LBB59_3:                               ;   Parent Loop BB59_2 Depth=1
                                        ; =>  This Inner Loop Header: Depth=2
	v_ashrrev_i32_e32 v2, 31, v1
	v_lshlrev_b64 v[8:9], 4, v[1:2]
	s_add_i32 s24, s24, 1
	v_add_co_u32_e32 v8, vcc, s31, v8
	v_addc_co_u32_e32 v9, vcc, v5, v9, vcc
	global_load_dwordx4 v[11:14], v[8:9], off
	v_cmp_eq_u32_e32 vcc, s24, v3
	v_add_u32_e32 v1, s30, v1
	s_or_b64 s[20:21], vcc, s[20:21]
	s_waitcnt vmcnt(0)
	ds_write2_b64 v7, v[11:12], v[13:14] offset1:1
	v_add_u32_e32 v7, s22, v7
	s_andn2_b64 exec, exec, s[20:21]
	s_cbranch_execnz .LBB59_3
; %bb.4:                                ;   in Loop: Header=BB59_2 Depth=1
	s_or_b64 exec, exec, s[20:21]
	v_add_u32_e32 v6, s11, v6
	v_cmp_le_i32_e32 vcc, s10, v6
	v_add_u32_e32 v3, s11, v3
	s_or_b64 s[18:19], vcc, s[18:19]
	v_add_u32_e32 v4, s23, v4
	s_andn2_b64 exec, exec, s[18:19]
	s_cbranch_execnz .LBB59_2
.LBB59_5:
	s_or_b64 exec, exec, s[16:17]
	s_cmp_lt_i32 s10, 2
	s_waitcnt lgkmcnt(0)
	s_barrier
	s_cbranch_scc1 .LBB59_31
; %bb.6:
	s_load_dwordx2 s[16:17], s[4:5], 0x18
	s_mul_i32 s4, s14, s7
	s_mul_hi_u32 s5, s14, s6
	s_add_i32 s7, s5, s4
	s_mul_i32 s15, s15, s6
	s_add_i32 s7, s7, s15
	s_mul_i32 s6, s14, s6
	s_waitcnt lgkmcnt(0)
	s_ashr_i32 s5, s16, 31
	s_lshl_b64 s[6:7], s[6:7], 4
	s_mov_b32 s4, s16
	s_add_u32 s16, s12, s6
	s_addc_u32 s34, s13, s7
	s_lshl_b32 s35, s10, 4
	s_add_i32 s36, s35, 0
	s_add_i32 s12, s10, -2
	s_sub_i32 s37, s9, s10
	s_mov_b32 s13, 0
	s_cmpk_lg_i32 s8, 0xb5
	s_cselect_b64 s[14:15], -1, 0
	s_add_i32 s38, s9, -2
	s_lshl_b64 s[4:5], s[4:5], 4
	s_lshl_b64 s[6:7], s[12:13], 4
	s_add_u32 s8, s2, s6
	s_addc_u32 s9, s3, s7
	s_add_u32 s8, s8, s4
	v_lshlrev_b32_e32 v3, 4, v0
	s_addc_u32 s9, s9, s5
	v_mov_b32_e32 v1, s9
	v_add_co_u32_e32 v2, vcc, s8, v3
	s_ashr_i32 s9, s17, 31
	s_mov_b32 s8, s17
	s_lshl_b32 s39, s11, 4
	s_lshl_b64 s[8:9], s[8:9], 4
	s_add_u32 s6, s4, s6
	s_addc_u32 s7, s5, s7
	s_add_u32 s40, s2, s6
	s_addc_u32 s41, s3, s7
	;; [unrolled: 2-line block ×3, first 2 shown]
	s_add_i32 s2, s10, -1
	s_mul_i32 s20, s17, s2
	v_mul_lo_u32 v11, v0, s17
	s_add_i32 s2, s35, 16
	v_addc_co_u32_e32 v4, vcc, 0, v1, vcc
	s_mul_i32 s2, s10, s2
	v_add_co_u32_e32 v1, vcc, 16, v2
	s_add_i32 s2, s2, 0
	v_addc_co_u32_e32 v2, vcc, 0, v4, vcc
	s_mul_i32 s18, s17, s12
	s_mul_i32 s44, s17, s11
	v_add3_u32 v12, s2, v3, -16
	s_xor_b32 s45, s35, -16
	s_branch .LBB59_8
.LBB59_7:                               ;   in Loop: Header=BB59_8 Depth=1
	s_or_b64 exec, exec, s[2:3]
	s_add_i32 s2, s12, -1
	s_add_i32 s38, s38, -1
	s_add_u32 s40, s40, -16
	v_add_co_u32_e32 v1, vcc, -16, v1
	s_addc_u32 s41, s41, -1
	s_sub_i32 s18, s18, s17
	s_sub_i32 s20, s20, s17
	v_addc_co_u32_e32 v2, vcc, -1, v2, vcc
	v_add_u32_e32 v12, s45, v12
	s_cmp_lt_i32 s12, 1
	s_mov_b32 s12, s2
	s_waitcnt lgkmcnt(0)
	s_barrier
	s_cbranch_scc1 .LBB59_31
.LBB59_8:                               ; =>This Loop Header: Depth=1
                                        ;     Child Loop BB59_13 Depth 2
                                        ;       Child Loop BB59_15 Depth 3
                                        ;     Child Loop BB59_22 Depth 2
                                        ;       Child Loop BB59_24 Depth 3
	;; [unrolled: 2-line block ×3, first 2 shown]
	s_not_b32 s2, s12
	s_add_i32 s46, s10, s2
	s_lshl_b32 s2, s12, 4
	s_add_i32 s47, s36, s2
	s_mul_i32 s2, s12, s10
	s_lshl_b32 s2, s2, 4
	s_add_i32 s28, s12, s37
	s_add_i32 s47, s47, s2
	s_mov_b64 s[4:5], -1
	s_and_b64 vcc, exec, s[14:15]
	v_cmp_gt_i32_e64 s[2:3], s46, v0
	s_cbranch_vccz .LBB59_17
; %bb.9:                                ;   in Loop: Header=BB59_8 Depth=1
	s_and_saveexec_b64 s[22:23], s[2:3]
	s_cbranch_execz .LBB59_16
; %bb.10:                               ;   in Loop: Header=BB59_8 Depth=1
	s_cmp_gt_i32 s28, 0
	s_cselect_b64 s[2:3], -1, 0
	s_lshl_b64 s[4:5], s[12:13], 4
	s_add_u32 s24, s16, s4
	s_addc_u32 s25, s34, s5
	s_load_dwordx4 s[4:7], s[24:25], 0x0
	v_cndmask_b32_e64 v3, 0, 1, s[2:3]
	v_cmp_ne_u32_e64 s[2:3], 1, v3
	v_mov_b32_e32 v4, v2
	s_mov_b64 s[24:25], 0
	v_mov_b32_e32 v3, v1
	v_mov_b32_e32 v9, v0
	s_branch .LBB59_13
.LBB59_11:                              ;   in Loop: Header=BB59_13 Depth=2
	v_mov_b32_e32 v7, 0
	v_mov_b32_e32 v8, 0
.LBB59_12:                              ;   in Loop: Header=BB59_13 Depth=2
	s_waitcnt lgkmcnt(0)
	v_mul_f64 v[13:14], v[5:6], s[6:7]
	v_mul_f64 v[15:16], v[7:8], s[6:7]
	v_lshlrev_b32_e32 v17, 4, v9
	v_add_u32_e32 v9, s11, v9
	v_cmp_le_i32_e32 vcc, s46, v9
	s_or_b64 s[24:25], vcc, s[24:25]
	v_add_co_u32_e32 v3, vcc, s39, v3
	v_fma_f64 v[13:14], v[7:8], s[4:5], -v[13:14]
	v_fma_f64 v[15:16], v[5:6], s[4:5], v[15:16]
	v_add_u32_e32 v5, s47, v17
	ds_read2_b64 v[5:8], v5 offset0:2 offset1:3
	v_addc_co_u32_e32 v4, vcc, 0, v4, vcc
	s_waitcnt lgkmcnt(0)
	v_add_f64 v[5:6], v[5:6], v[13:14]
	v_add_f64 v[7:8], v[7:8], v[15:16]
	v_add_u32_e32 v13, 0, v17
	ds_write2_b64 v13, v[5:6], v[7:8] offset1:1
	s_andn2_b64 exec, exec, s[24:25]
	s_cbranch_execz .LBB59_16
.LBB59_13:                              ;   Parent Loop BB59_8 Depth=1
                                        ; =>  This Loop Header: Depth=2
                                        ;       Child Loop BB59_15 Depth 3
	v_mov_b32_e32 v5, 0
	v_mov_b32_e32 v6, 0
	s_and_b64 vcc, exec, s[2:3]
	s_cbranch_vccnz .LBB59_11
; %bb.14:                               ;   in Loop: Header=BB59_13 Depth=2
	v_mov_b32_e32 v7, 0
	s_mov_b32 s19, 0
	v_mov_b32_e32 v8, 0
	s_mov_b64 s[26:27], 0
.LBB59_15:                              ;   Parent Loop BB59_8 Depth=1
                                        ;     Parent Loop BB59_13 Depth=2
                                        ; =>    This Inner Loop Header: Depth=3
	v_mov_b32_e32 v13, s27
	s_add_u32 s48, s40, s26
	v_add_co_u32_e32 v21, vcc, s26, v3
	v_addc_co_u32_e32 v22, vcc, v4, v13, vcc
	s_addc_u32 s49, s41, s27
	v_mov_b32_e32 v23, s48
	v_mov_b32_e32 v24, s49
	flat_load_dwordx4 v[13:16], v[21:22]
	flat_load_dwordx4 v[17:20], v[23:24]
	s_add_i32 s19, s19, 1
	s_add_u32 s26, s26, s8
	s_addc_u32 s27, s27, s9
	s_cmp_eq_u32 s38, s19
	s_waitcnt vmcnt(0) lgkmcnt(0)
	v_mul_f64 v[21:22], v[19:20], v[15:16]
	v_mul_f64 v[19:20], v[19:20], v[13:14]
	v_fma_f64 v[13:14], v[17:18], v[13:14], v[21:22]
	v_fma_f64 v[15:16], v[17:18], v[15:16], -v[19:20]
	v_add_f64 v[7:8], v[7:8], v[13:14]
	v_add_f64 v[5:6], v[5:6], v[15:16]
	s_cbranch_scc0 .LBB59_15
	s_branch .LBB59_12
.LBB59_16:                              ;   in Loop: Header=BB59_8 Depth=1
	s_or_b64 exec, exec, s[22:23]
	s_mov_b64 s[4:5], 0
.LBB59_17:                              ;   in Loop: Header=BB59_8 Depth=1
	s_andn2_b64 vcc, exec, s[4:5]
	s_cbranch_vccnz .LBB59_26
; %bb.18:                               ;   in Loop: Header=BB59_8 Depth=1
	v_cmp_gt_i32_e32 vcc, s46, v0
	s_and_saveexec_b64 s[2:3], vcc
	s_cbranch_execz .LBB59_25
; %bb.19:                               ;   in Loop: Header=BB59_8 Depth=1
	s_ashr_i32 s19, s18, 31
	s_lshl_b64 s[4:5], s[18:19], 4
	s_add_u32 s22, s42, s4
	s_addc_u32 s23, s43, s5
	s_ashr_i32 s21, s20, 31
	s_lshl_b64 s[26:27], s[20:21], 4
	s_cmp_gt_i32 s28, 0
	s_cselect_b64 s[24:25], -1, 0
	s_lshl_b64 s[4:5], s[12:13], 4
	s_add_u32 s28, s16, s4
	s_addc_u32 s29, s34, s5
	s_load_dwordx4 s[4:7], s[28:29], 0x0
	s_add_u32 s19, s42, s26
	s_addc_u32 s21, s43, s27
	s_mov_b64 s[26:27], 0
	v_mov_b32_e32 v3, v11
	v_mov_b32_e32 v13, v0
	s_branch .LBB59_22
.LBB59_20:                              ;   in Loop: Header=BB59_22 Depth=2
	v_mov_b32_e32 v4, 0
	v_mov_b32_e32 v6, 0
	;; [unrolled: 1-line block ×4, first 2 shown]
.LBB59_21:                              ;   in Loop: Header=BB59_22 Depth=2
	s_waitcnt lgkmcnt(0)
	v_mul_f64 v[8:9], v[4:5], s[6:7]
	v_mul_f64 v[14:15], v[6:7], s[6:7]
	v_lshlrev_b32_e32 v16, 4, v13
	v_add_u32_e32 v13, s11, v13
	v_cmp_le_i32_e32 vcc, s46, v13
	s_or_b64 s[26:27], vcc, s[26:27]
	v_add_u32_e32 v3, s44, v3
	v_fma_f64 v[8:9], v[6:7], s[4:5], -v[8:9]
	v_fma_f64 v[14:15], v[4:5], s[4:5], v[14:15]
	v_add_u32_e32 v4, s47, v16
	ds_read2_b64 v[4:7], v4 offset0:2 offset1:3
	s_waitcnt lgkmcnt(0)
	v_add_f64 v[4:5], v[4:5], v[8:9]
	v_add_f64 v[6:7], v[6:7], v[14:15]
	v_add_u32_e32 v8, 0, v16
	ds_write2_b64 v8, v[4:5], v[6:7] offset1:1
	s_andn2_b64 exec, exec, s[26:27]
	s_cbranch_execz .LBB59_25
.LBB59_22:                              ;   Parent Loop BB59_8 Depth=1
                                        ; =>  This Loop Header: Depth=2
                                        ;       Child Loop BB59_24 Depth 3
	s_andn2_b64 vcc, exec, s[24:25]
	s_cbranch_vccnz .LBB59_20
; %bb.23:                               ;   in Loop: Header=BB59_22 Depth=2
	v_ashrrev_i32_e32 v4, 31, v3
	v_lshlrev_b64 v[4:5], 4, v[3:4]
	v_mov_b32_e32 v6, s21
	v_add_co_u32_e32 v8, vcc, s19, v4
	v_addc_co_u32_e32 v9, vcc, v6, v5, vcc
	v_mov_b32_e32 v4, 0
	v_mov_b32_e32 v6, 0
	;; [unrolled: 1-line block ×3, first 2 shown]
	s_mov_b32 s48, 0
	v_mov_b32_e32 v7, 0
	s_mov_b64 s[28:29], s[22:23]
.LBB59_24:                              ;   Parent Loop BB59_8 Depth=1
                                        ;     Parent Loop BB59_22 Depth=2
                                        ; =>    This Inner Loop Header: Depth=3
	v_mov_b32_e32 v18, s28
	v_mov_b32_e32 v19, s29
	flat_load_dwordx4 v[14:17], v[8:9]
	s_add_i32 s48, s48, 1
	flat_load_dwordx4 v[18:21], v[18:19]
	s_add_u32 s28, s28, 16
	v_add_co_u32_e32 v8, vcc, 16, v8
	s_addc_u32 s29, s29, 0
	s_cmp_eq_u32 s38, s48
	v_addc_co_u32_e32 v9, vcc, 0, v9, vcc
	s_waitcnt vmcnt(0) lgkmcnt(0)
	v_mul_f64 v[22:23], v[16:17], v[20:21]
	v_mul_f64 v[16:17], v[16:17], v[18:19]
	v_fma_f64 v[18:19], v[14:15], v[18:19], v[22:23]
	v_fma_f64 v[14:15], v[14:15], v[20:21], -v[16:17]
	v_add_f64 v[6:7], v[6:7], v[18:19]
	v_add_f64 v[4:5], v[4:5], v[14:15]
	s_cbranch_scc0 .LBB59_24
	s_branch .LBB59_21
.LBB59_25:                              ;   in Loop: Header=BB59_8 Depth=1
	s_or_b64 exec, exec, s[2:3]
.LBB59_26:                              ;   in Loop: Header=BB59_8 Depth=1
	v_cmp_gt_i32_e32 vcc, s46, v0
	s_waitcnt lgkmcnt(0)
	s_barrier
	s_and_saveexec_b64 s[2:3], vcc
	s_cbranch_execz .LBB59_7
; %bb.27:                               ;   in Loop: Header=BB59_8 Depth=1
	s_mov_b64 s[4:5], 0
	v_mov_b32_e32 v7, v12
	v_mov_b32_e32 v8, v0
.LBB59_28:                              ;   Parent Loop BB59_8 Depth=1
                                        ; =>  This Loop Header: Depth=2
                                        ;       Child Loop BB59_29 Depth 3
	v_mov_b32_e32 v3, 0
	v_mov_b32_e32 v5, 0
	;; [unrolled: 1-line block ×3, first 2 shown]
	s_mov_b32 s19, -1
	s_mov_b32 s21, 0
	s_mov_b64 s[6:7], 0
	v_mov_b32_e32 v6, 0
	v_mov_b32_e32 v9, v7
.LBB59_29:                              ;   Parent Loop BB59_8 Depth=1
                                        ;     Parent Loop BB59_28 Depth=2
                                        ; =>    This Inner Loop Header: Depth=3
	v_mov_b32_e32 v17, s21
	ds_read2_b64 v[13:16], v9 offset1:1
	ds_read2_b64 v[17:20], v17 offset1:1
	s_add_i32 s19, s19, 1
	s_add_i32 s21, s21, 16
	v_cmp_eq_u32_e32 vcc, s19, v8
	s_or_b64 s[6:7], vcc, s[6:7]
	s_waitcnt lgkmcnt(0)
	v_mul_f64 v[21:22], v[19:20], v[15:16]
	v_mul_f64 v[15:16], v[17:18], v[15:16]
	v_add_u32_e32 v9, s35, v9
	v_fma_f64 v[17:18], v[17:18], v[13:14], -v[21:22]
	v_fma_f64 v[13:14], v[19:20], v[13:14], v[15:16]
	v_add_f64 v[3:4], v[3:4], v[17:18]
	v_add_f64 v[5:6], v[5:6], v[13:14]
	s_andn2_b64 exec, exec, s[6:7]
	s_cbranch_execnz .LBB59_29
; %bb.30:                               ;   in Loop: Header=BB59_28 Depth=2
	s_or_b64 exec, exec, s[6:7]
	v_lshl_add_u32 v9, v8, 4, s47
	v_add_u32_e32 v8, s11, v8
	v_cmp_le_i32_e32 vcc, s46, v8
	s_or_b64 s[4:5], vcc, s[4:5]
	v_add_u32_e32 v7, s39, v7
	ds_write2_b64 v9, v[3:4], v[5:6] offset0:2 offset1:3
	s_andn2_b64 exec, exec, s[4:5]
	s_cbranch_execnz .LBB59_28
	s_branch .LBB59_7
.LBB59_31:
	s_and_saveexec_b64 s[2:3], s[0:1]
	s_cbranch_execz .LBB59_36
; %bb.32:
	s_lshl_b32 s4, s10, 4
	s_add_i32 s0, s4, 0
	v_lshl_add_u32 v3, v0, 4, s0
	s_lshl_b32 s5, s11, 4
	s_mov_b64 s[0:1], 0
	v_mov_b32_e32 v4, s33
.LBB59_33:                              ; =>This Loop Header: Depth=1
                                        ;     Child Loop BB59_34 Depth 2
	s_mov_b64 s[2:3], 0
	v_mov_b32_e32 v5, v3
	v_mov_b32_e32 v1, v0
	s_mov_b32 s6, 0
.LBB59_34:                              ;   Parent Loop BB59_33 Depth=1
                                        ; =>  This Inner Loop Header: Depth=2
	v_ashrrev_i32_e32 v2, 31, v1
	ds_read2_b64 v[6:9], v5 offset1:1
	s_add_i32 s6, s6, 1
	v_lshlrev_b64 v[11:12], 4, v[1:2]
	v_cmp_eq_u32_e32 vcc, s6, v10
	s_or_b64 s[2:3], vcc, s[2:3]
	v_add_co_u32_e32 v11, vcc, s31, v11
	v_add_u32_e32 v5, s4, v5
	v_add_u32_e32 v1, s30, v1
	v_addc_co_u32_e32 v12, vcc, v4, v12, vcc
	s_waitcnt lgkmcnt(0)
	global_store_dwordx4 v[11:12], v[6:9], off
	s_andn2_b64 exec, exec, s[2:3]
	s_cbranch_execnz .LBB59_34
; %bb.35:                               ;   in Loop: Header=BB59_33 Depth=1
	s_or_b64 exec, exec, s[2:3]
	v_add_u32_e32 v0, s11, v0
	v_cmp_le_i32_e32 vcc, s10, v0
	v_add_u32_e32 v10, s11, v10
	s_or_b64 s[0:1], vcc, s[0:1]
	v_add_u32_e32 v3, s5, v3
	s_andn2_b64 exec, exec, s[0:1]
	s_cbranch_execnz .LBB59_33
.LBB59_36:
	s_endpgm
	.section	.rodata,"a",@progbits
	.p2align	6, 0x0
	.amdhsa_kernel _ZN9rocsolver6v33100L21larft_kernel_backwardI19rocblas_complex_numIdEPKPS3_EEv15rocblas_storev_iiT0_iilPT_lSA_il
		.amdhsa_group_segment_fixed_size 0
		.amdhsa_private_segment_fixed_size 0
		.amdhsa_kernarg_size 336
		.amdhsa_user_sgpr_count 6
		.amdhsa_user_sgpr_private_segment_buffer 1
		.amdhsa_user_sgpr_dispatch_ptr 0
		.amdhsa_user_sgpr_queue_ptr 0
		.amdhsa_user_sgpr_kernarg_segment_ptr 1
		.amdhsa_user_sgpr_dispatch_id 0
		.amdhsa_user_sgpr_flat_scratch_init 0
		.amdhsa_user_sgpr_private_segment_size 0
		.amdhsa_uses_dynamic_stack 0
		.amdhsa_system_sgpr_private_segment_wavefront_offset 0
		.amdhsa_system_sgpr_workgroup_id_x 1
		.amdhsa_system_sgpr_workgroup_id_y 1
		.amdhsa_system_sgpr_workgroup_id_z 0
		.amdhsa_system_sgpr_workgroup_info 0
		.amdhsa_system_vgpr_workitem_id 0
		.amdhsa_next_free_vgpr 25
		.amdhsa_next_free_sgpr 50
		.amdhsa_reserve_vcc 1
		.amdhsa_reserve_flat_scratch 0
		.amdhsa_float_round_mode_32 0
		.amdhsa_float_round_mode_16_64 0
		.amdhsa_float_denorm_mode_32 3
		.amdhsa_float_denorm_mode_16_64 3
		.amdhsa_dx10_clamp 1
		.amdhsa_ieee_mode 1
		.amdhsa_fp16_overflow 0
		.amdhsa_exception_fp_ieee_invalid_op 0
		.amdhsa_exception_fp_denorm_src 0
		.amdhsa_exception_fp_ieee_div_zero 0
		.amdhsa_exception_fp_ieee_overflow 0
		.amdhsa_exception_fp_ieee_underflow 0
		.amdhsa_exception_fp_ieee_inexact 0
		.amdhsa_exception_int_div_zero 0
	.end_amdhsa_kernel
	.section	.text._ZN9rocsolver6v33100L21larft_kernel_backwardI19rocblas_complex_numIdEPKPS3_EEv15rocblas_storev_iiT0_iilPT_lSA_il,"axG",@progbits,_ZN9rocsolver6v33100L21larft_kernel_backwardI19rocblas_complex_numIdEPKPS3_EEv15rocblas_storev_iiT0_iilPT_lSA_il,comdat
.Lfunc_end59:
	.size	_ZN9rocsolver6v33100L21larft_kernel_backwardI19rocblas_complex_numIdEPKPS3_EEv15rocblas_storev_iiT0_iilPT_lSA_il, .Lfunc_end59-_ZN9rocsolver6v33100L21larft_kernel_backwardI19rocblas_complex_numIdEPKPS3_EEv15rocblas_storev_iiT0_iilPT_lSA_il
                                        ; -- End function
	.set _ZN9rocsolver6v33100L21larft_kernel_backwardI19rocblas_complex_numIdEPKPS3_EEv15rocblas_storev_iiT0_iilPT_lSA_il.num_vgpr, 25
	.set _ZN9rocsolver6v33100L21larft_kernel_backwardI19rocblas_complex_numIdEPKPS3_EEv15rocblas_storev_iiT0_iilPT_lSA_il.num_agpr, 0
	.set _ZN9rocsolver6v33100L21larft_kernel_backwardI19rocblas_complex_numIdEPKPS3_EEv15rocblas_storev_iiT0_iilPT_lSA_il.numbered_sgpr, 50
	.set _ZN9rocsolver6v33100L21larft_kernel_backwardI19rocblas_complex_numIdEPKPS3_EEv15rocblas_storev_iiT0_iilPT_lSA_il.num_named_barrier, 0
	.set _ZN9rocsolver6v33100L21larft_kernel_backwardI19rocblas_complex_numIdEPKPS3_EEv15rocblas_storev_iiT0_iilPT_lSA_il.private_seg_size, 0
	.set _ZN9rocsolver6v33100L21larft_kernel_backwardI19rocblas_complex_numIdEPKPS3_EEv15rocblas_storev_iiT0_iilPT_lSA_il.uses_vcc, 1
	.set _ZN9rocsolver6v33100L21larft_kernel_backwardI19rocblas_complex_numIdEPKPS3_EEv15rocblas_storev_iiT0_iilPT_lSA_il.uses_flat_scratch, 0
	.set _ZN9rocsolver6v33100L21larft_kernel_backwardI19rocblas_complex_numIdEPKPS3_EEv15rocblas_storev_iiT0_iilPT_lSA_il.has_dyn_sized_stack, 0
	.set _ZN9rocsolver6v33100L21larft_kernel_backwardI19rocblas_complex_numIdEPKPS3_EEv15rocblas_storev_iiT0_iilPT_lSA_il.has_recursion, 0
	.set _ZN9rocsolver6v33100L21larft_kernel_backwardI19rocblas_complex_numIdEPKPS3_EEv15rocblas_storev_iiT0_iilPT_lSA_il.has_indirect_call, 0
	.section	.AMDGPU.csdata,"",@progbits
; Kernel info:
; codeLenInByte = 1772
; TotalNumSgprs: 54
; NumVgprs: 25
; ScratchSize: 0
; MemoryBound: 1
; FloatMode: 240
; IeeeMode: 1
; LDSByteSize: 0 bytes/workgroup (compile time only)
; SGPRBlocks: 6
; VGPRBlocks: 6
; NumSGPRsForWavesPerEU: 54
; NumVGPRsForWavesPerEU: 25
; Occupancy: 9
; WaveLimiterHint : 0
; COMPUTE_PGM_RSRC2:SCRATCH_EN: 0
; COMPUTE_PGM_RSRC2:USER_SGPR: 6
; COMPUTE_PGM_RSRC2:TRAP_HANDLER: 0
; COMPUTE_PGM_RSRC2:TGID_X_EN: 1
; COMPUTE_PGM_RSRC2:TGID_Y_EN: 1
; COMPUTE_PGM_RSRC2:TGID_Z_EN: 0
; COMPUTE_PGM_RSRC2:TIDIG_COMP_CNT: 0
	.section	.text._ZN9rocsolver6v33100L9copymatA1I19rocblas_complex_numIdEPKPS3_EEviiT0_iilPT_,"axG",@progbits,_ZN9rocsolver6v33100L9copymatA1I19rocblas_complex_numIdEPKPS3_EEviiT0_iilPT_,comdat
	.globl	_ZN9rocsolver6v33100L9copymatA1I19rocblas_complex_numIdEPKPS3_EEviiT0_iilPT_ ; -- Begin function _ZN9rocsolver6v33100L9copymatA1I19rocblas_complex_numIdEPKPS3_EEviiT0_iilPT_
	.p2align	8
	.type	_ZN9rocsolver6v33100L9copymatA1I19rocblas_complex_numIdEPKPS3_EEviiT0_iilPT_,@function
_ZN9rocsolver6v33100L9copymatA1I19rocblas_complex_numIdEPKPS3_EEviiT0_iilPT_: ; @_ZN9rocsolver6v33100L9copymatA1I19rocblas_complex_numIdEPKPS3_EEviiT0_iilPT_
; %bb.0:
	s_load_dword s0, s[4:5], 0x34
	s_load_dwordx2 s[2:3], s[4:5], 0x0
	s_waitcnt lgkmcnt(0)
	s_lshr_b32 s1, s0, 16
	s_and_b32 s0, s0, 0xffff
	s_mul_i32 s6, s6, s0
	s_mul_i32 s7, s7, s1
	v_add_u32_e32 v2, s6, v0
	v_add_u32_e32 v0, s7, v1
	v_cmp_gt_u32_e32 vcc, s2, v0
	v_cmp_gt_u32_e64 s[0:1], s3, v2
	s_and_b64 s[0:1], s[0:1], vcc
	s_and_saveexec_b64 s[6:7], s[0:1]
	s_cbranch_execz .LBB60_2
; %bb.1:
	s_load_dwordx4 s[12:15], s[4:5], 0x8
	s_load_dwordx2 s[0:1], s[4:5], 0x20
	s_ashr_i32 s4, s2, 31
	s_mul_hi_u32 s6, s2, s8
	s_mul_i32 s4, s4, s8
	s_ashr_i32 s5, s3, 31
	s_add_i32 s4, s6, s4
	s_mul_i32 s6, s2, s8
	s_mul_i32 s5, s6, s5
	s_mul_hi_u32 s7, s6, s3
	s_add_i32 s5, s7, s5
	s_mul_i32 s4, s4, s3
	s_add_i32 s5, s5, s4
	s_mul_i32 s4, s6, s3
	s_lshl_b64 s[4:5], s[4:5], 4
	s_mov_b32 s9, 0
	s_waitcnt lgkmcnt(0)
	s_add_u32 s3, s0, s4
	s_addc_u32 s10, s1, s5
	s_ashr_i32 s1, s14, 31
	s_lshl_b64 s[4:5], s[8:9], 3
	s_add_u32 s4, s12, s4
	s_addc_u32 s5, s13, s5
	s_load_dwordx2 s[4:5], s[4:5], 0x0
	v_mad_u64_u32 v[6:7], s[6:7], v2, s15, v[0:1]
	s_mov_b32 s0, s14
	s_lshl_b64 s[0:1], s[0:1], 4
	v_mov_b32_e32 v7, 0
	s_waitcnt lgkmcnt(0)
	s_add_u32 s0, s4, s0
	v_lshlrev_b64 v[3:4], 4, v[6:7]
	s_addc_u32 s1, s5, s1
	v_mov_b32_e32 v1, s1
	v_add_co_u32_e32 v3, vcc, s0, v3
	v_addc_co_u32_e32 v4, vcc, v1, v4, vcc
	flat_load_dwordx4 v[3:6], v[3:4]
	v_mad_u64_u32 v[0:1], s[0:1], v2, s2, v[0:1]
	v_mov_b32_e32 v1, v7
	v_mov_b32_e32 v2, s10
	v_lshlrev_b64 v[0:1], 4, v[0:1]
	v_add_co_u32_e32 v0, vcc, s3, v0
	v_addc_co_u32_e32 v1, vcc, v2, v1, vcc
	s_waitcnt vmcnt(0) lgkmcnt(0)
	global_store_dwordx4 v[0:1], v[3:6], off
.LBB60_2:
	s_endpgm
	.section	.rodata,"a",@progbits
	.p2align	6, 0x0
	.amdhsa_kernel _ZN9rocsolver6v33100L9copymatA1I19rocblas_complex_numIdEPKPS3_EEviiT0_iilPT_
		.amdhsa_group_segment_fixed_size 0
		.amdhsa_private_segment_fixed_size 0
		.amdhsa_kernarg_size 296
		.amdhsa_user_sgpr_count 6
		.amdhsa_user_sgpr_private_segment_buffer 1
		.amdhsa_user_sgpr_dispatch_ptr 0
		.amdhsa_user_sgpr_queue_ptr 0
		.amdhsa_user_sgpr_kernarg_segment_ptr 1
		.amdhsa_user_sgpr_dispatch_id 0
		.amdhsa_user_sgpr_flat_scratch_init 0
		.amdhsa_user_sgpr_private_segment_size 0
		.amdhsa_uses_dynamic_stack 0
		.amdhsa_system_sgpr_private_segment_wavefront_offset 0
		.amdhsa_system_sgpr_workgroup_id_x 1
		.amdhsa_system_sgpr_workgroup_id_y 1
		.amdhsa_system_sgpr_workgroup_id_z 1
		.amdhsa_system_sgpr_workgroup_info 0
		.amdhsa_system_vgpr_workitem_id 1
		.amdhsa_next_free_vgpr 8
		.amdhsa_next_free_sgpr 16
		.amdhsa_reserve_vcc 1
		.amdhsa_reserve_flat_scratch 0
		.amdhsa_float_round_mode_32 0
		.amdhsa_float_round_mode_16_64 0
		.amdhsa_float_denorm_mode_32 3
		.amdhsa_float_denorm_mode_16_64 3
		.amdhsa_dx10_clamp 1
		.amdhsa_ieee_mode 1
		.amdhsa_fp16_overflow 0
		.amdhsa_exception_fp_ieee_invalid_op 0
		.amdhsa_exception_fp_denorm_src 0
		.amdhsa_exception_fp_ieee_div_zero 0
		.amdhsa_exception_fp_ieee_overflow 0
		.amdhsa_exception_fp_ieee_underflow 0
		.amdhsa_exception_fp_ieee_inexact 0
		.amdhsa_exception_int_div_zero 0
	.end_amdhsa_kernel
	.section	.text._ZN9rocsolver6v33100L9copymatA1I19rocblas_complex_numIdEPKPS3_EEviiT0_iilPT_,"axG",@progbits,_ZN9rocsolver6v33100L9copymatA1I19rocblas_complex_numIdEPKPS3_EEviiT0_iilPT_,comdat
.Lfunc_end60:
	.size	_ZN9rocsolver6v33100L9copymatA1I19rocblas_complex_numIdEPKPS3_EEviiT0_iilPT_, .Lfunc_end60-_ZN9rocsolver6v33100L9copymatA1I19rocblas_complex_numIdEPKPS3_EEviiT0_iilPT_
                                        ; -- End function
	.set _ZN9rocsolver6v33100L9copymatA1I19rocblas_complex_numIdEPKPS3_EEviiT0_iilPT_.num_vgpr, 8
	.set _ZN9rocsolver6v33100L9copymatA1I19rocblas_complex_numIdEPKPS3_EEviiT0_iilPT_.num_agpr, 0
	.set _ZN9rocsolver6v33100L9copymatA1I19rocblas_complex_numIdEPKPS3_EEviiT0_iilPT_.numbered_sgpr, 16
	.set _ZN9rocsolver6v33100L9copymatA1I19rocblas_complex_numIdEPKPS3_EEviiT0_iilPT_.num_named_barrier, 0
	.set _ZN9rocsolver6v33100L9copymatA1I19rocblas_complex_numIdEPKPS3_EEviiT0_iilPT_.private_seg_size, 0
	.set _ZN9rocsolver6v33100L9copymatA1I19rocblas_complex_numIdEPKPS3_EEviiT0_iilPT_.uses_vcc, 1
	.set _ZN9rocsolver6v33100L9copymatA1I19rocblas_complex_numIdEPKPS3_EEviiT0_iilPT_.uses_flat_scratch, 0
	.set _ZN9rocsolver6v33100L9copymatA1I19rocblas_complex_numIdEPKPS3_EEviiT0_iilPT_.has_dyn_sized_stack, 0
	.set _ZN9rocsolver6v33100L9copymatA1I19rocblas_complex_numIdEPKPS3_EEviiT0_iilPT_.has_recursion, 0
	.set _ZN9rocsolver6v33100L9copymatA1I19rocblas_complex_numIdEPKPS3_EEviiT0_iilPT_.has_indirect_call, 0
	.section	.AMDGPU.csdata,"",@progbits
; Kernel info:
; codeLenInByte = 288
; TotalNumSgprs: 20
; NumVgprs: 8
; ScratchSize: 0
; MemoryBound: 0
; FloatMode: 240
; IeeeMode: 1
; LDSByteSize: 0 bytes/workgroup (compile time only)
; SGPRBlocks: 2
; VGPRBlocks: 1
; NumSGPRsForWavesPerEU: 20
; NumVGPRsForWavesPerEU: 8
; Occupancy: 10
; WaveLimiterHint : 0
; COMPUTE_PGM_RSRC2:SCRATCH_EN: 0
; COMPUTE_PGM_RSRC2:USER_SGPR: 6
; COMPUTE_PGM_RSRC2:TRAP_HANDLER: 0
; COMPUTE_PGM_RSRC2:TGID_X_EN: 1
; COMPUTE_PGM_RSRC2:TGID_Y_EN: 1
; COMPUTE_PGM_RSRC2:TGID_Z_EN: 1
; COMPUTE_PGM_RSRC2:TIDIG_COMP_CNT: 1
	.section	.text._ZN9rocsolver6v33100L8addmatA1I19rocblas_complex_numIdEPKPS3_EEviiT0_iilPT_,"axG",@progbits,_ZN9rocsolver6v33100L8addmatA1I19rocblas_complex_numIdEPKPS3_EEviiT0_iilPT_,comdat
	.globl	_ZN9rocsolver6v33100L8addmatA1I19rocblas_complex_numIdEPKPS3_EEviiT0_iilPT_ ; -- Begin function _ZN9rocsolver6v33100L8addmatA1I19rocblas_complex_numIdEPKPS3_EEviiT0_iilPT_
	.p2align	8
	.type	_ZN9rocsolver6v33100L8addmatA1I19rocblas_complex_numIdEPKPS3_EEviiT0_iilPT_,@function
_ZN9rocsolver6v33100L8addmatA1I19rocblas_complex_numIdEPKPS3_EEviiT0_iilPT_: ; @_ZN9rocsolver6v33100L8addmatA1I19rocblas_complex_numIdEPKPS3_EEviiT0_iilPT_
; %bb.0:
	s_load_dword s0, s[4:5], 0x34
	s_load_dwordx2 s[10:11], s[4:5], 0x0
	s_waitcnt lgkmcnt(0)
	s_lshr_b32 s1, s0, 16
	s_and_b32 s0, s0, 0xffff
	s_mul_i32 s6, s6, s0
	s_mul_i32 s7, s7, s1
	v_add_u32_e32 v2, s6, v0
	v_add_u32_e32 v0, s7, v1
	v_cmp_gt_u32_e32 vcc, s10, v0
	v_cmp_gt_u32_e64 s[0:1], s11, v2
	s_and_b64 s[0:1], s[0:1], vcc
	s_and_saveexec_b64 s[2:3], s[0:1]
	s_cbranch_execz .LBB61_2
; %bb.1:
	s_load_dwordx4 s[0:3], s[4:5], 0x8
	s_load_dwordx2 s[6:7], s[4:5], 0x20
	s_ashr_i32 s4, s10, 31
	s_mul_hi_u32 s12, s10, s8
	s_mul_i32 s4, s4, s8
	s_ashr_i32 s5, s11, 31
	s_add_i32 s4, s12, s4
	s_mul_i32 s12, s10, s8
	s_mul_i32 s5, s12, s5
	s_mul_hi_u32 s13, s12, s11
	s_add_i32 s5, s13, s5
	s_mul_i32 s4, s4, s11
	s_add_i32 s5, s5, s4
	s_mul_i32 s4, s12, s11
	s_lshl_b64 s[4:5], s[4:5], 4
	s_mov_b32 s9, 0
	s_waitcnt lgkmcnt(0)
	s_add_u32 s11, s6, s4
	s_addc_u32 s12, s7, s5
	s_ashr_i32 s5, s2, 31
	s_lshl_b64 s[6:7], s[8:9], 3
	s_add_u32 s0, s0, s6
	s_addc_u32 s1, s1, s7
	s_load_dwordx2 s[0:1], s[0:1], 0x0
	s_mov_b32 s4, s2
	s_lshl_b64 s[4:5], s[4:5], 4
	v_mad_u64_u32 v[3:4], s[6:7], v2, s10, v[0:1]
	s_waitcnt lgkmcnt(0)
	s_add_u32 s2, s0, s4
	s_addc_u32 s4, s1, s5
	v_mad_u64_u32 v[0:1], s[0:1], v2, s3, v[0:1]
	v_mov_b32_e32 v4, 0
	v_lshlrev_b64 v[5:6], 4, v[3:4]
	v_mov_b32_e32 v1, v4
	v_mov_b32_e32 v3, s12
	v_add_co_u32_e32 v8, vcc, s11, v5
	v_lshlrev_b64 v[0:1], 4, v[0:1]
	v_addc_co_u32_e32 v9, vcc, v3, v6, vcc
	v_mov_b32_e32 v2, s4
	v_add_co_u32_e32 v10, vcc, s2, v0
	v_addc_co_u32_e32 v11, vcc, v2, v1, vcc
	global_load_dwordx4 v[0:3], v[8:9], off
	flat_load_dwordx4 v[4:7], v[10:11]
	s_waitcnt vmcnt(0) lgkmcnt(0)
	v_add_f64 v[0:1], v[4:5], -v[0:1]
	v_add_f64 v[2:3], v[6:7], -v[2:3]
	flat_store_dwordx4 v[10:11], v[0:3]
.LBB61_2:
	s_endpgm
	.section	.rodata,"a",@progbits
	.p2align	6, 0x0
	.amdhsa_kernel _ZN9rocsolver6v33100L8addmatA1I19rocblas_complex_numIdEPKPS3_EEviiT0_iilPT_
		.amdhsa_group_segment_fixed_size 0
		.amdhsa_private_segment_fixed_size 0
		.amdhsa_kernarg_size 296
		.amdhsa_user_sgpr_count 6
		.amdhsa_user_sgpr_private_segment_buffer 1
		.amdhsa_user_sgpr_dispatch_ptr 0
		.amdhsa_user_sgpr_queue_ptr 0
		.amdhsa_user_sgpr_kernarg_segment_ptr 1
		.amdhsa_user_sgpr_dispatch_id 0
		.amdhsa_user_sgpr_flat_scratch_init 0
		.amdhsa_user_sgpr_private_segment_size 0
		.amdhsa_uses_dynamic_stack 0
		.amdhsa_system_sgpr_private_segment_wavefront_offset 0
		.amdhsa_system_sgpr_workgroup_id_x 1
		.amdhsa_system_sgpr_workgroup_id_y 1
		.amdhsa_system_sgpr_workgroup_id_z 1
		.amdhsa_system_sgpr_workgroup_info 0
		.amdhsa_system_vgpr_workitem_id 1
		.amdhsa_next_free_vgpr 12
		.amdhsa_next_free_sgpr 14
		.amdhsa_reserve_vcc 1
		.amdhsa_reserve_flat_scratch 0
		.amdhsa_float_round_mode_32 0
		.amdhsa_float_round_mode_16_64 0
		.amdhsa_float_denorm_mode_32 3
		.amdhsa_float_denorm_mode_16_64 3
		.amdhsa_dx10_clamp 1
		.amdhsa_ieee_mode 1
		.amdhsa_fp16_overflow 0
		.amdhsa_exception_fp_ieee_invalid_op 0
		.amdhsa_exception_fp_denorm_src 0
		.amdhsa_exception_fp_ieee_div_zero 0
		.amdhsa_exception_fp_ieee_overflow 0
		.amdhsa_exception_fp_ieee_underflow 0
		.amdhsa_exception_fp_ieee_inexact 0
		.amdhsa_exception_int_div_zero 0
	.end_amdhsa_kernel
	.section	.text._ZN9rocsolver6v33100L8addmatA1I19rocblas_complex_numIdEPKPS3_EEviiT0_iilPT_,"axG",@progbits,_ZN9rocsolver6v33100L8addmatA1I19rocblas_complex_numIdEPKPS3_EEviiT0_iilPT_,comdat
.Lfunc_end61:
	.size	_ZN9rocsolver6v33100L8addmatA1I19rocblas_complex_numIdEPKPS3_EEviiT0_iilPT_, .Lfunc_end61-_ZN9rocsolver6v33100L8addmatA1I19rocblas_complex_numIdEPKPS3_EEviiT0_iilPT_
                                        ; -- End function
	.set _ZN9rocsolver6v33100L8addmatA1I19rocblas_complex_numIdEPKPS3_EEviiT0_iilPT_.num_vgpr, 12
	.set _ZN9rocsolver6v33100L8addmatA1I19rocblas_complex_numIdEPKPS3_EEviiT0_iilPT_.num_agpr, 0
	.set _ZN9rocsolver6v33100L8addmatA1I19rocblas_complex_numIdEPKPS3_EEviiT0_iilPT_.numbered_sgpr, 14
	.set _ZN9rocsolver6v33100L8addmatA1I19rocblas_complex_numIdEPKPS3_EEviiT0_iilPT_.num_named_barrier, 0
	.set _ZN9rocsolver6v33100L8addmatA1I19rocblas_complex_numIdEPKPS3_EEviiT0_iilPT_.private_seg_size, 0
	.set _ZN9rocsolver6v33100L8addmatA1I19rocblas_complex_numIdEPKPS3_EEviiT0_iilPT_.uses_vcc, 1
	.set _ZN9rocsolver6v33100L8addmatA1I19rocblas_complex_numIdEPKPS3_EEviiT0_iilPT_.uses_flat_scratch, 0
	.set _ZN9rocsolver6v33100L8addmatA1I19rocblas_complex_numIdEPKPS3_EEviiT0_iilPT_.has_dyn_sized_stack, 0
	.set _ZN9rocsolver6v33100L8addmatA1I19rocblas_complex_numIdEPKPS3_EEviiT0_iilPT_.has_recursion, 0
	.set _ZN9rocsolver6v33100L8addmatA1I19rocblas_complex_numIdEPKPS3_EEviiT0_iilPT_.has_indirect_call, 0
	.section	.AMDGPU.csdata,"",@progbits
; Kernel info:
; codeLenInByte = 312
; TotalNumSgprs: 18
; NumVgprs: 12
; ScratchSize: 0
; MemoryBound: 0
; FloatMode: 240
; IeeeMode: 1
; LDSByteSize: 0 bytes/workgroup (compile time only)
; SGPRBlocks: 2
; VGPRBlocks: 2
; NumSGPRsForWavesPerEU: 18
; NumVGPRsForWavesPerEU: 12
; Occupancy: 10
; WaveLimiterHint : 1
; COMPUTE_PGM_RSRC2:SCRATCH_EN: 0
; COMPUTE_PGM_RSRC2:USER_SGPR: 6
; COMPUTE_PGM_RSRC2:TRAP_HANDLER: 0
; COMPUTE_PGM_RSRC2:TGID_X_EN: 1
; COMPUTE_PGM_RSRC2:TGID_Y_EN: 1
; COMPUTE_PGM_RSRC2:TGID_Z_EN: 1
; COMPUTE_PGM_RSRC2:TIDIG_COMP_CNT: 1
	.section	.AMDGPU.gpr_maximums,"",@progbits
	.set amdgpu.max_num_vgpr, 0
	.set amdgpu.max_num_agpr, 0
	.set amdgpu.max_num_sgpr, 0
	.section	.AMDGPU.csdata,"",@progbits
	.type	__hip_cuid_10b85eda1bc7a14e,@object ; @__hip_cuid_10b85eda1bc7a14e
	.section	.bss,"aw",@nobits
	.globl	__hip_cuid_10b85eda1bc7a14e
__hip_cuid_10b85eda1bc7a14e:
	.byte	0                               ; 0x0
	.size	__hip_cuid_10b85eda1bc7a14e, 1

	.ident	"AMD clang version 22.0.0git (https://github.com/RadeonOpenCompute/llvm-project roc-7.2.4 26084 f58b06dce1f9c15707c5f808fd002e18c2accf7e)"
	.section	".note.GNU-stack","",@progbits
	.addrsig
	.addrsig_sym __hip_cuid_10b85eda1bc7a14e
	.amdgpu_metadata
---
amdhsa.kernels:
  - .args:
      - .address_space:  global
        .offset:         0
        .size:           8
        .value_kind:     global_buffer
      - .offset:         8
        .size:           4
        .value_kind:     by_value
      - .offset:         12
        .size:           4
        .value_kind:     by_value
    .group_segment_fixed_size: 0
    .kernarg_segment_align: 8
    .kernarg_segment_size: 16
    .language:       OpenCL C
    .language_version:
      - 2
      - 0
    .max_flat_workgroup_size: 32
    .name:           _ZN9rocsolver6v33100L6iota_nIfEEvPT_jS2_
    .private_segment_fixed_size: 0
    .sgpr_count:     10
    .sgpr_spill_count: 0
    .symbol:         _ZN9rocsolver6v33100L6iota_nIfEEvPT_jS2_.kd
    .uniform_work_group_size: 1
    .uses_dynamic_stack: false
    .vgpr_count:     2
    .vgpr_spill_count: 0
    .wavefront_size: 64
  - .args:
      - .offset:         0
        .size:           4
        .value_kind:     by_value
      - .offset:         4
        .size:           4
        .value_kind:     by_value
      - .address_space:  global
        .offset:         8
        .size:           8
        .value_kind:     global_buffer
      - .offset:         16
        .size:           8
        .value_kind:     by_value
      - .offset:         24
        .size:           4
        .value_kind:     by_value
      - .offset:         32
        .size:           8
        .value_kind:     by_value
    .group_segment_fixed_size: 0
    .kernarg_segment_align: 8
    .kernarg_segment_size: 40
    .language:       OpenCL C
    .language_version:
      - 2
      - 0
    .max_flat_workgroup_size: 1024
    .name:           _ZN9rocsolver6v33100L13conj_in_placeIfiPKPfTnNSt9enable_ifIXnt18rocblas_is_complexIT_EEiE4typeELi0EEEvT0_S9_T1_lS9_l
    .private_segment_fixed_size: 0
    .sgpr_count:     4
    .sgpr_spill_count: 0
    .symbol:         _ZN9rocsolver6v33100L13conj_in_placeIfiPKPfTnNSt9enable_ifIXnt18rocblas_is_complexIT_EEiE4typeELi0EEEvT0_S9_T1_lS9_l.kd
    .uniform_work_group_size: 1
    .uses_dynamic_stack: false
    .vgpr_count:     0
    .vgpr_spill_count: 0
    .wavefront_size: 64
  - .args:
      - .address_space:  global
        .offset:         0
        .size:           8
        .value_kind:     global_buffer
      - .offset:         8
        .size:           8
        .value_kind:     by_value
      - .offset:         16
        .size:           4
        .value_kind:     by_value
      - .offset:         20
        .size:           4
        .value_kind:     by_value
      - .offset:         24
        .size:           4
        .value_kind:     hidden_block_count_x
      - .offset:         28
        .size:           4
        .value_kind:     hidden_block_count_y
      - .offset:         32
        .size:           4
        .value_kind:     hidden_block_count_z
      - .offset:         36
        .size:           2
        .value_kind:     hidden_group_size_x
      - .offset:         38
        .size:           2
        .value_kind:     hidden_group_size_y
      - .offset:         40
        .size:           2
        .value_kind:     hidden_group_size_z
      - .offset:         42
        .size:           2
        .value_kind:     hidden_remainder_x
      - .offset:         44
        .size:           2
        .value_kind:     hidden_remainder_y
      - .offset:         46
        .size:           2
        .value_kind:     hidden_remainder_z
      - .offset:         64
        .size:           8
        .value_kind:     hidden_global_offset_x
      - .offset:         72
        .size:           8
        .value_kind:     hidden_global_offset_y
      - .offset:         80
        .size:           8
        .value_kind:     hidden_global_offset_z
      - .offset:         88
        .size:           2
        .value_kind:     hidden_grid_dims
    .group_segment_fixed_size: 0
    .kernarg_segment_align: 8
    .kernarg_segment_size: 280
    .language:       OpenCL C
    .language_version:
      - 2
      - 0
    .max_flat_workgroup_size: 1024
    .name:           _ZN9rocsolver6v33100L16reset_batch_infoIfiiPfEEvT2_lT0_T1_
    .private_segment_fixed_size: 0
    .sgpr_count:     16
    .sgpr_spill_count: 0
    .symbol:         _ZN9rocsolver6v33100L16reset_batch_infoIfiiPfEEvT2_lT0_T1_.kd
    .uniform_work_group_size: 1
    .uses_dynamic_stack: false
    .vgpr_count:     4
    .vgpr_spill_count: 0
    .wavefront_size: 64
  - .args:
      - .address_space:  global
        .offset:         0
        .size:           8
        .value_kind:     global_buffer
      - .offset:         8
        .size:           8
        .value_kind:     by_value
      - .address_space:  global
        .offset:         16
        .size:           8
        .value_kind:     global_buffer
      - .address_space:  global
        .offset:         24
        .size:           8
        .value_kind:     global_buffer
      - .offset:         32
        .size:           8
        .value_kind:     by_value
      - .offset:         40
        .size:           8
        .value_kind:     by_value
      - .address_space:  global
        .offset:         48
        .size:           8
        .value_kind:     global_buffer
      - .offset:         56
        .size:           8
        .value_kind:     by_value
      - .offset:         64
        .size:           8
        .value_kind:     by_value
    .group_segment_fixed_size: 0
    .kernarg_segment_align: 8
    .kernarg_segment_size: 72
    .language:       OpenCL C
    .language_version:
      - 2
      - 0
    .max_flat_workgroup_size: 1024
    .name:           _ZN9rocsolver6v33100L11set_taubetaIfifPKPfEEvPT_lS6_T2_llPT1_ll
    .private_segment_fixed_size: 0
    .sgpr_count:     26
    .sgpr_spill_count: 0
    .symbol:         _ZN9rocsolver6v33100L11set_taubetaIfifPKPfEEvPT_lS6_T2_llPT1_ll.kd
    .uniform_work_group_size: 1
    .uses_dynamic_stack: false
    .vgpr_count:     10
    .vgpr_spill_count: 0
    .wavefront_size: 64
  - .args:
      - .address_space:  global
        .offset:         0
        .size:           8
        .value_kind:     global_buffer
      - .offset:         8
        .size:           8
        .value_kind:     by_value
      - .offset:         16
        .size:           8
        .value_kind:     by_value
      - .address_space:  global
        .offset:         24
        .size:           8
        .value_kind:     global_buffer
      - .offset:         32
        .size:           8
        .value_kind:     by_value
      - .offset:         40
        .size:           4
        .value_kind:     by_value
      - .offset:         48
        .size:           8
        .value_kind:     by_value
      - .offset:         56
        .size:           4
        .value_kind:     by_value
      - .offset:         60
        .size:           1
        .value_kind:     by_value
      - .offset:         64
        .size:           4
        .value_kind:     hidden_block_count_x
      - .offset:         68
        .size:           4
        .value_kind:     hidden_block_count_y
      - .offset:         72
        .size:           4
        .value_kind:     hidden_block_count_z
      - .offset:         76
        .size:           2
        .value_kind:     hidden_group_size_x
      - .offset:         78
        .size:           2
        .value_kind:     hidden_group_size_y
      - .offset:         80
        .size:           2
        .value_kind:     hidden_group_size_z
      - .offset:         82
        .size:           2
        .value_kind:     hidden_remainder_x
      - .offset:         84
        .size:           2
        .value_kind:     hidden_remainder_y
      - .offset:         86
        .size:           2
        .value_kind:     hidden_remainder_z
      - .offset:         104
        .size:           8
        .value_kind:     hidden_global_offset_x
      - .offset:         112
        .size:           8
        .value_kind:     hidden_global_offset_y
      - .offset:         120
        .size:           8
        .value_kind:     hidden_global_offset_z
      - .offset:         128
        .size:           2
        .value_kind:     hidden_grid_dims
    .group_segment_fixed_size: 0
    .kernarg_segment_align: 8
    .kernarg_segment_size: 320
    .language:       OpenCL C
    .language_version:
      - 2
      - 0
    .max_flat_workgroup_size: 1024
    .name:           _ZN9rocsolver6v33100L8set_diagIfifPKPfTnNSt9enable_ifIXoont18rocblas_is_complexIT_E18rocblas_is_complexIT1_EEiE4typeELi0EEEvPS7_llT2_lT0_lSC_b
    .private_segment_fixed_size: 0
    .sgpr_count:     21
    .sgpr_spill_count: 0
    .symbol:         _ZN9rocsolver6v33100L8set_diagIfifPKPfTnNSt9enable_ifIXoont18rocblas_is_complexIT_E18rocblas_is_complexIT1_EEiE4typeELi0EEEvPS7_llT2_lT0_lSC_b.kd
    .uniform_work_group_size: 1
    .uses_dynamic_stack: false
    .vgpr_count:     6
    .vgpr_spill_count: 0
    .wavefront_size: 64
  - .args:
      - .offset:         0
        .size:           4
        .value_kind:     by_value
      - .offset:         4
        .size:           4
        .value_kind:     by_value
      - .address_space:  global
        .offset:         8
        .size:           8
        .value_kind:     global_buffer
      - .offset:         16
        .size:           8
        .value_kind:     by_value
      - .offset:         24
        .size:           4
        .value_kind:     by_value
      - .offset:         32
        .size:           8
        .value_kind:     by_value
      - .address_space:  global
        .offset:         40
        .size:           8
        .value_kind:     global_buffer
      - .offset:         48
        .size:           8
        .value_kind:     by_value
      - .address_space:  global
        .offset:         56
        .size:           8
        .value_kind:     global_buffer
      - .offset:         64
        .size:           8
        .value_kind:     by_value
      - .offset:         72
        .size:           4
        .value_kind:     by_value
      - .offset:         80
        .size:           8
        .value_kind:     by_value
    .group_segment_fixed_size: 0
    .kernarg_segment_align: 8
    .kernarg_segment_size: 88
    .language:       OpenCL C
    .language_version:
      - 2
      - 0
    .max_flat_workgroup_size: 1024
    .name:           _ZN9rocsolver6v33100L16larf_left_kernelILi1024EfiPKPfEEvT1_S5_T2_lS5_lPKT0_lS6_lS5_l
    .private_segment_fixed_size: 0
    .sgpr_count:     34
    .sgpr_spill_count: 0
    .symbol:         _ZN9rocsolver6v33100L16larf_left_kernelILi1024EfiPKPfEEvT1_S5_T2_lS5_lPKT0_lS6_lS5_l.kd
    .uniform_work_group_size: 1
    .uses_dynamic_stack: false
    .vgpr_count:     15
    .vgpr_spill_count: 0
    .wavefront_size: 64
  - .args:
      - .offset:         0
        .size:           4
        .value_kind:     by_value
      - .offset:         4
        .size:           4
        .value_kind:     by_value
      - .address_space:  global
        .offset:         8
        .size:           8
        .value_kind:     global_buffer
      - .offset:         16
        .size:           8
        .value_kind:     by_value
      - .offset:         24
        .size:           4
        .value_kind:     by_value
      - .offset:         32
        .size:           8
        .value_kind:     by_value
      - .address_space:  global
        .offset:         40
        .size:           8
        .value_kind:     global_buffer
      - .offset:         48
        .size:           8
        .value_kind:     by_value
      - .address_space:  global
        .offset:         56
        .size:           8
        .value_kind:     global_buffer
      - .offset:         64
        .size:           8
        .value_kind:     by_value
      - .offset:         72
        .size:           4
        .value_kind:     by_value
      - .offset:         80
        .size:           8
        .value_kind:     by_value
    .group_segment_fixed_size: 0
    .kernarg_segment_align: 8
    .kernarg_segment_size: 88
    .language:       OpenCL C
    .language_version:
      - 2
      - 0
    .max_flat_workgroup_size: 1024
    .name:           _ZN9rocsolver6v33100L17larf_right_kernelILi1024EfiPKPfEEvT1_S5_T2_lS5_lPKT0_lS6_lS5_l
    .private_segment_fixed_size: 0
    .sgpr_count:     34
    .sgpr_spill_count: 0
    .symbol:         _ZN9rocsolver6v33100L17larf_right_kernelILi1024EfiPKPfEEvT1_S5_T2_lS5_lPKT0_lS6_lS5_l.kd
    .uniform_work_group_size: 1
    .uses_dynamic_stack: false
    .vgpr_count:     15
    .vgpr_spill_count: 0
    .wavefront_size: 64
  - .args:
      - .address_space:  global
        .offset:         0
        .size:           8
        .value_kind:     global_buffer
      - .address_space:  global
        .offset:         8
        .size:           8
        .value_kind:     global_buffer
      - .offset:         16
        .size:           8
        .value_kind:     by_value
      - .offset:         24
        .size:           4
        .value_kind:     by_value
      - .offset:         32
        .size:           4
        .value_kind:     hidden_block_count_x
      - .offset:         36
        .size:           4
        .value_kind:     hidden_block_count_y
      - .offset:         40
        .size:           4
        .value_kind:     hidden_block_count_z
      - .offset:         44
        .size:           2
        .value_kind:     hidden_group_size_x
      - .offset:         46
        .size:           2
        .value_kind:     hidden_group_size_y
      - .offset:         48
        .size:           2
        .value_kind:     hidden_group_size_z
      - .offset:         50
        .size:           2
        .value_kind:     hidden_remainder_x
      - .offset:         52
        .size:           2
        .value_kind:     hidden_remainder_y
      - .offset:         54
        .size:           2
        .value_kind:     hidden_remainder_z
      - .offset:         72
        .size:           8
        .value_kind:     hidden_global_offset_x
      - .offset:         80
        .size:           8
        .value_kind:     hidden_global_offset_y
      - .offset:         88
        .size:           8
        .value_kind:     hidden_global_offset_z
      - .offset:         96
        .size:           2
        .value_kind:     hidden_grid_dims
    .group_segment_fixed_size: 0
    .kernarg_segment_align: 8
    .kernarg_segment_size: 288
    .language:       OpenCL C
    .language_version:
      - 2
      - 0
    .max_flat_workgroup_size: 1024
    .name:           _ZN9rocsolver6v33100L9get_arrayIfiEEvPPT_S3_lT0_
    .private_segment_fixed_size: 0
    .sgpr_count:     12
    .sgpr_spill_count: 0
    .symbol:         _ZN9rocsolver6v33100L9get_arrayIfiEEvPPT_S3_lT0_.kd
    .uniform_work_group_size: 1
    .uses_dynamic_stack: false
    .vgpr_count:     7
    .vgpr_spill_count: 0
    .wavefront_size: 64
  - .args:
      - .address_space:  global
        .offset:         0
        .size:           8
        .value_kind:     global_buffer
      - .offset:         8
        .size:           8
        .value_kind:     by_value
      - .offset:         16
        .size:           8
        .value_kind:     by_value
      - .address_space:  global
        .offset:         24
        .size:           8
        .value_kind:     global_buffer
      - .offset:         32
        .size:           8
        .value_kind:     by_value
      - .offset:         40
        .size:           4
        .value_kind:     by_value
      - .offset:         48
        .size:           8
        .value_kind:     by_value
      - .offset:         56
        .size:           4
        .value_kind:     by_value
      - .offset:         64
        .size:           4
        .value_kind:     hidden_block_count_x
      - .offset:         68
        .size:           4
        .value_kind:     hidden_block_count_y
      - .offset:         72
        .size:           4
        .value_kind:     hidden_block_count_z
      - .offset:         76
        .size:           2
        .value_kind:     hidden_group_size_x
      - .offset:         78
        .size:           2
        .value_kind:     hidden_group_size_y
      - .offset:         80
        .size:           2
        .value_kind:     hidden_group_size_z
      - .offset:         82
        .size:           2
        .value_kind:     hidden_remainder_x
      - .offset:         84
        .size:           2
        .value_kind:     hidden_remainder_y
      - .offset:         86
        .size:           2
        .value_kind:     hidden_remainder_z
      - .offset:         104
        .size:           8
        .value_kind:     hidden_global_offset_x
      - .offset:         112
        .size:           8
        .value_kind:     hidden_global_offset_y
      - .offset:         120
        .size:           8
        .value_kind:     hidden_global_offset_z
      - .offset:         128
        .size:           2
        .value_kind:     hidden_grid_dims
    .group_segment_fixed_size: 0
    .kernarg_segment_align: 8
    .kernarg_segment_size: 320
    .language:       OpenCL C
    .language_version:
      - 2
      - 0
    .max_flat_workgroup_size: 1024
    .name:           _ZN9rocsolver6v33100L12restore_diagIfifPKPfEEvPT1_llT2_lT0_lS8_
    .private_segment_fixed_size: 0
    .sgpr_count:     21
    .sgpr_spill_count: 0
    .symbol:         _ZN9rocsolver6v33100L12restore_diagIfifPKPfEEvPT1_llT2_lT0_lS8_.kd
    .uniform_work_group_size: 1
    .uses_dynamic_stack: false
    .vgpr_count:     5
    .vgpr_spill_count: 0
    .wavefront_size: 64
  - .args:
      - .offset:         0
        .size:           4
        .value_kind:     by_value
      - .offset:         4
        .size:           4
        .value_kind:     by_value
      - .address_space:  global
        .offset:         8
        .size:           8
        .value_kind:     global_buffer
      - .offset:         16
        .size:           4
        .value_kind:     by_value
      - .offset:         20
        .size:           4
        .value_kind:     by_value
      - .offset:         24
        .size:           8
        .value_kind:     by_value
      - .address_space:  global
        .offset:         32
        .size:           8
        .value_kind:     global_buffer
      - .offset:         40
        .size:           8
        .value_kind:     by_value
      - .address_space:  global
        .offset:         48
        .size:           8
        .value_kind:     global_buffer
      - .offset:         56
        .size:           4
        .value_kind:     by_value
      - .offset:         64
        .size:           8
        .value_kind:     by_value
      - .offset:         72
        .size:           4
        .value_kind:     by_value
      - .offset:         76
        .size:           4
        .value_kind:     by_value
      - .offset:         80
        .size:           1
        .value_kind:     by_value
      - .offset:         88
        .size:           4
        .value_kind:     hidden_block_count_x
      - .offset:         92
        .size:           4
        .value_kind:     hidden_block_count_y
      - .offset:         96
        .size:           4
        .value_kind:     hidden_block_count_z
      - .offset:         100
        .size:           2
        .value_kind:     hidden_group_size_x
      - .offset:         102
        .size:           2
        .value_kind:     hidden_group_size_y
      - .offset:         104
        .size:           2
        .value_kind:     hidden_group_size_z
      - .offset:         106
        .size:           2
        .value_kind:     hidden_remainder_x
      - .offset:         108
        .size:           2
        .value_kind:     hidden_remainder_y
      - .offset:         110
        .size:           2
        .value_kind:     hidden_remainder_z
      - .offset:         128
        .size:           8
        .value_kind:     hidden_global_offset_x
      - .offset:         136
        .size:           8
        .value_kind:     hidden_global_offset_y
      - .offset:         144
        .size:           8
        .value_kind:     hidden_global_offset_z
      - .offset:         152
        .size:           2
        .value_kind:     hidden_grid_dims
    .group_segment_fixed_size: 0
    .kernarg_segment_align: 8
    .kernarg_segment_size: 344
    .language:       OpenCL C
    .language_version:
      - 2
      - 0
    .max_flat_workgroup_size: 1024
    .name:           _ZN9rocsolver6v33100L14set_triangularIfPKPfTnNSt9enable_ifIXnt18rocblas_is_complexIT_EEiE4typeELi0EEEviiT0_iilPS6_lSA_il15rocblas_direct_15rocblas_storev_b
    .private_segment_fixed_size: 0
    .sgpr_count:     25
    .sgpr_spill_count: 0
    .symbol:         _ZN9rocsolver6v33100L14set_triangularIfPKPfTnNSt9enable_ifIXnt18rocblas_is_complexIT_EEiE4typeELi0EEEviiT0_iilPS6_lSA_il15rocblas_direct_15rocblas_storev_b.kd
    .uniform_work_group_size: 1
    .uses_dynamic_stack: false
    .vgpr_count:     14
    .vgpr_spill_count: 0
    .wavefront_size: 64
  - .args:
      - .offset:         0
        .size:           4
        .value_kind:     by_value
      - .address_space:  global
        .offset:         8
        .size:           8
        .value_kind:     global_buffer
      - .offset:         16
        .size:           8
        .value_kind:     by_value
      - .offset:         24
        .size:           4
        .value_kind:     hidden_block_count_x
      - .offset:         28
        .size:           4
        .value_kind:     hidden_block_count_y
      - .offset:         32
        .size:           4
        .value_kind:     hidden_block_count_z
      - .offset:         36
        .size:           2
        .value_kind:     hidden_group_size_x
      - .offset:         38
        .size:           2
        .value_kind:     hidden_group_size_y
      - .offset:         40
        .size:           2
        .value_kind:     hidden_group_size_z
      - .offset:         42
        .size:           2
        .value_kind:     hidden_remainder_x
      - .offset:         44
        .size:           2
        .value_kind:     hidden_remainder_y
      - .offset:         46
        .size:           2
        .value_kind:     hidden_remainder_z
      - .offset:         64
        .size:           8
        .value_kind:     hidden_global_offset_x
      - .offset:         72
        .size:           8
        .value_kind:     hidden_global_offset_y
      - .offset:         80
        .size:           8
        .value_kind:     hidden_global_offset_z
      - .offset:         88
        .size:           2
        .value_kind:     hidden_grid_dims
    .group_segment_fixed_size: 0
    .kernarg_segment_align: 8
    .kernarg_segment_size: 280
    .language:       OpenCL C
    .language_version:
      - 2
      - 0
    .max_flat_workgroup_size: 1024
    .name:           _ZN9rocsolver6v33100L7set_tauIfEEviPT_l
    .private_segment_fixed_size: 0
    .sgpr_count:     12
    .sgpr_spill_count: 0
    .symbol:         _ZN9rocsolver6v33100L7set_tauIfEEviPT_l.kd
    .uniform_work_group_size: 1
    .uses_dynamic_stack: false
    .vgpr_count:     3
    .vgpr_spill_count: 0
    .wavefront_size: 64
  - .args:
      - .offset:         0
        .size:           4
        .value_kind:     by_value
      - .offset:         4
        .size:           4
        .value_kind:     by_value
      - .offset:         8
        .size:           4
        .value_kind:     by_value
      - .address_space:  global
        .offset:         16
        .size:           8
        .value_kind:     global_buffer
      - .offset:         24
        .size:           4
        .value_kind:     by_value
      - .offset:         28
        .size:           4
        .value_kind:     by_value
      - .offset:         32
        .size:           8
        .value_kind:     by_value
      - .address_space:  global
        .offset:         40
        .size:           8
        .value_kind:     global_buffer
      - .offset:         48
        .size:           8
        .value_kind:     by_value
      - .address_space:  global
        .offset:         56
        .size:           8
        .value_kind:     global_buffer
      - .offset:         64
        .size:           4
        .value_kind:     by_value
      - .offset:         72
        .size:           8
        .value_kind:     by_value
      - .offset:         80
        .size:           4
        .value_kind:     hidden_block_count_x
      - .offset:         84
        .size:           4
        .value_kind:     hidden_block_count_y
      - .offset:         88
        .size:           4
        .value_kind:     hidden_block_count_z
      - .offset:         92
        .size:           2
        .value_kind:     hidden_group_size_x
      - .offset:         94
        .size:           2
        .value_kind:     hidden_group_size_y
      - .offset:         96
        .size:           2
        .value_kind:     hidden_group_size_z
      - .offset:         98
        .size:           2
        .value_kind:     hidden_remainder_x
      - .offset:         100
        .size:           2
        .value_kind:     hidden_remainder_y
      - .offset:         102
        .size:           2
        .value_kind:     hidden_remainder_z
      - .offset:         120
        .size:           8
        .value_kind:     hidden_global_offset_x
      - .offset:         128
        .size:           8
        .value_kind:     hidden_global_offset_y
      - .offset:         136
        .size:           8
        .value_kind:     hidden_global_offset_z
      - .offset:         144
        .size:           2
        .value_kind:     hidden_grid_dims
      - .offset:         200
        .size:           4
        .value_kind:     hidden_dynamic_lds_size
    .group_segment_fixed_size: 0
    .kernarg_segment_align: 8
    .kernarg_segment_size: 336
    .language:       OpenCL C
    .language_version:
      - 2
      - 0
    .max_flat_workgroup_size: 1024
    .name:           _ZN9rocsolver6v33100L20larft_kernel_forwardIfPKPfEEv15rocblas_storev_iiT0_iilPT_lS8_il
    .private_segment_fixed_size: 0
    .sgpr_count:     52
    .sgpr_spill_count: 0
    .symbol:         _ZN9rocsolver6v33100L20larft_kernel_forwardIfPKPfEEv15rocblas_storev_iiT0_iilPT_lS8_il.kd
    .uniform_work_group_size: 1
    .uses_dynamic_stack: false
    .vgpr_count:     17
    .vgpr_spill_count: 0
    .wavefront_size: 64
  - .args:
      - .offset:         0
        .size:           4
        .value_kind:     by_value
      - .offset:         4
        .size:           4
        .value_kind:     by_value
      - .offset:         8
        .size:           4
        .value_kind:     by_value
      - .address_space:  global
        .offset:         16
        .size:           8
        .value_kind:     global_buffer
      - .offset:         24
        .size:           4
        .value_kind:     by_value
      - .offset:         28
        .size:           4
        .value_kind:     by_value
      - .offset:         32
        .size:           8
        .value_kind:     by_value
      - .address_space:  global
        .offset:         40
        .size:           8
        .value_kind:     global_buffer
      - .offset:         48
        .size:           8
        .value_kind:     by_value
      - .address_space:  global
        .offset:         56
        .size:           8
        .value_kind:     global_buffer
      - .offset:         64
        .size:           4
        .value_kind:     by_value
      - .offset:         72
        .size:           8
        .value_kind:     by_value
      - .offset:         80
        .size:           4
        .value_kind:     hidden_block_count_x
      - .offset:         84
        .size:           4
        .value_kind:     hidden_block_count_y
      - .offset:         88
        .size:           4
        .value_kind:     hidden_block_count_z
      - .offset:         92
        .size:           2
        .value_kind:     hidden_group_size_x
      - .offset:         94
        .size:           2
        .value_kind:     hidden_group_size_y
      - .offset:         96
        .size:           2
        .value_kind:     hidden_group_size_z
      - .offset:         98
        .size:           2
        .value_kind:     hidden_remainder_x
      - .offset:         100
        .size:           2
        .value_kind:     hidden_remainder_y
      - .offset:         102
        .size:           2
        .value_kind:     hidden_remainder_z
      - .offset:         120
        .size:           8
        .value_kind:     hidden_global_offset_x
      - .offset:         128
        .size:           8
        .value_kind:     hidden_global_offset_y
      - .offset:         136
        .size:           8
        .value_kind:     hidden_global_offset_z
      - .offset:         144
        .size:           2
        .value_kind:     hidden_grid_dims
      - .offset:         200
        .size:           4
        .value_kind:     hidden_dynamic_lds_size
    .group_segment_fixed_size: 0
    .kernarg_segment_align: 8
    .kernarg_segment_size: 336
    .language:       OpenCL C
    .language_version:
      - 2
      - 0
    .max_flat_workgroup_size: 1024
    .name:           _ZN9rocsolver6v33100L21larft_kernel_backwardIfPKPfEEv15rocblas_storev_iiT0_iilPT_lS8_il
    .private_segment_fixed_size: 0
    .sgpr_count:     50
    .sgpr_spill_count: 0
    .symbol:         _ZN9rocsolver6v33100L21larft_kernel_backwardIfPKPfEEv15rocblas_storev_iiT0_iilPT_lS8_il.kd
    .uniform_work_group_size: 1
    .uses_dynamic_stack: false
    .vgpr_count:     14
    .vgpr_spill_count: 0
    .wavefront_size: 64
  - .args:
      - .offset:         0
        .size:           4
        .value_kind:     by_value
      - .offset:         4
        .size:           4
        .value_kind:     by_value
      - .address_space:  global
        .offset:         8
        .size:           8
        .value_kind:     global_buffer
      - .offset:         16
        .size:           4
        .value_kind:     by_value
      - .offset:         20
        .size:           4
        .value_kind:     by_value
      - .offset:         24
        .size:           8
        .value_kind:     by_value
      - .address_space:  global
        .offset:         32
        .size:           8
        .value_kind:     global_buffer
      - .offset:         40
        .size:           4
        .value_kind:     hidden_block_count_x
      - .offset:         44
        .size:           4
        .value_kind:     hidden_block_count_y
      - .offset:         48
        .size:           4
        .value_kind:     hidden_block_count_z
      - .offset:         52
        .size:           2
        .value_kind:     hidden_group_size_x
      - .offset:         54
        .size:           2
        .value_kind:     hidden_group_size_y
      - .offset:         56
        .size:           2
        .value_kind:     hidden_group_size_z
      - .offset:         58
        .size:           2
        .value_kind:     hidden_remainder_x
      - .offset:         60
        .size:           2
        .value_kind:     hidden_remainder_y
      - .offset:         62
        .size:           2
        .value_kind:     hidden_remainder_z
      - .offset:         80
        .size:           8
        .value_kind:     hidden_global_offset_x
      - .offset:         88
        .size:           8
        .value_kind:     hidden_global_offset_y
      - .offset:         96
        .size:           8
        .value_kind:     hidden_global_offset_z
      - .offset:         104
        .size:           2
        .value_kind:     hidden_grid_dims
    .group_segment_fixed_size: 0
    .kernarg_segment_align: 8
    .kernarg_segment_size: 296
    .language:       OpenCL C
    .language_version:
      - 2
      - 0
    .max_flat_workgroup_size: 1024
    .name:           _ZN9rocsolver6v33100L9copymatA1IfPKPfEEviiT0_iilPT_
    .private_segment_fixed_size: 0
    .sgpr_count:     20
    .sgpr_spill_count: 0
    .symbol:         _ZN9rocsolver6v33100L9copymatA1IfPKPfEEviiT0_iilPT_.kd
    .uniform_work_group_size: 1
    .uses_dynamic_stack: false
    .vgpr_count:     7
    .vgpr_spill_count: 0
    .wavefront_size: 64
  - .args:
      - .offset:         0
        .size:           4
        .value_kind:     by_value
      - .offset:         4
        .size:           4
        .value_kind:     by_value
      - .address_space:  global
        .offset:         8
        .size:           8
        .value_kind:     global_buffer
      - .offset:         16
        .size:           4
        .value_kind:     by_value
      - .offset:         20
        .size:           4
        .value_kind:     by_value
      - .offset:         24
        .size:           8
        .value_kind:     by_value
      - .address_space:  global
        .offset:         32
        .size:           8
        .value_kind:     global_buffer
      - .offset:         40
        .size:           4
        .value_kind:     hidden_block_count_x
      - .offset:         44
        .size:           4
        .value_kind:     hidden_block_count_y
      - .offset:         48
        .size:           4
        .value_kind:     hidden_block_count_z
      - .offset:         52
        .size:           2
        .value_kind:     hidden_group_size_x
      - .offset:         54
        .size:           2
        .value_kind:     hidden_group_size_y
      - .offset:         56
        .size:           2
        .value_kind:     hidden_group_size_z
      - .offset:         58
        .size:           2
        .value_kind:     hidden_remainder_x
      - .offset:         60
        .size:           2
        .value_kind:     hidden_remainder_y
      - .offset:         62
        .size:           2
        .value_kind:     hidden_remainder_z
      - .offset:         80
        .size:           8
        .value_kind:     hidden_global_offset_x
      - .offset:         88
        .size:           8
        .value_kind:     hidden_global_offset_y
      - .offset:         96
        .size:           8
        .value_kind:     hidden_global_offset_z
      - .offset:         104
        .size:           2
        .value_kind:     hidden_grid_dims
    .group_segment_fixed_size: 0
    .kernarg_segment_align: 8
    .kernarg_segment_size: 296
    .language:       OpenCL C
    .language_version:
      - 2
      - 0
    .max_flat_workgroup_size: 1024
    .name:           _ZN9rocsolver6v33100L8addmatA1IfPKPfEEviiT0_iilPT_
    .private_segment_fixed_size: 0
    .sgpr_count:     18
    .sgpr_spill_count: 0
    .symbol:         _ZN9rocsolver6v33100L8addmatA1IfPKPfEEviiT0_iilPT_.kd
    .uniform_work_group_size: 1
    .uses_dynamic_stack: false
    .vgpr_count:     7
    .vgpr_spill_count: 0
    .wavefront_size: 64
  - .args:
      - .address_space:  global
        .offset:         0
        .size:           8
        .value_kind:     global_buffer
      - .offset:         8
        .size:           4
        .value_kind:     by_value
      - .offset:         16
        .size:           8
        .value_kind:     by_value
    .group_segment_fixed_size: 0
    .kernarg_segment_align: 8
    .kernarg_segment_size: 24
    .language:       OpenCL C
    .language_version:
      - 2
      - 0
    .max_flat_workgroup_size: 32
    .name:           _ZN9rocsolver6v33100L6iota_nIdEEvPT_jS2_
    .private_segment_fixed_size: 0
    .sgpr_count:     10
    .sgpr_spill_count: 0
    .symbol:         _ZN9rocsolver6v33100L6iota_nIdEEvPT_jS2_.kd
    .uniform_work_group_size: 1
    .uses_dynamic_stack: false
    .vgpr_count:     3
    .vgpr_spill_count: 0
    .wavefront_size: 64
  - .args:
      - .offset:         0
        .size:           4
        .value_kind:     by_value
      - .offset:         4
        .size:           4
        .value_kind:     by_value
      - .address_space:  global
        .offset:         8
        .size:           8
        .value_kind:     global_buffer
      - .offset:         16
        .size:           8
        .value_kind:     by_value
      - .offset:         24
        .size:           4
        .value_kind:     by_value
      - .offset:         32
        .size:           8
        .value_kind:     by_value
    .group_segment_fixed_size: 0
    .kernarg_segment_align: 8
    .kernarg_segment_size: 40
    .language:       OpenCL C
    .language_version:
      - 2
      - 0
    .max_flat_workgroup_size: 1024
    .name:           _ZN9rocsolver6v33100L13conj_in_placeIdiPKPdTnNSt9enable_ifIXnt18rocblas_is_complexIT_EEiE4typeELi0EEEvT0_S9_T1_lS9_l
    .private_segment_fixed_size: 0
    .sgpr_count:     4
    .sgpr_spill_count: 0
    .symbol:         _ZN9rocsolver6v33100L13conj_in_placeIdiPKPdTnNSt9enable_ifIXnt18rocblas_is_complexIT_EEiE4typeELi0EEEvT0_S9_T1_lS9_l.kd
    .uniform_work_group_size: 1
    .uses_dynamic_stack: false
    .vgpr_count:     0
    .vgpr_spill_count: 0
    .wavefront_size: 64
  - .args:
      - .address_space:  global
        .offset:         0
        .size:           8
        .value_kind:     global_buffer
      - .offset:         8
        .size:           8
        .value_kind:     by_value
      - .offset:         16
        .size:           4
        .value_kind:     by_value
      - .offset:         20
        .size:           4
        .value_kind:     by_value
      - .offset:         24
        .size:           4
        .value_kind:     hidden_block_count_x
      - .offset:         28
        .size:           4
        .value_kind:     hidden_block_count_y
      - .offset:         32
        .size:           4
        .value_kind:     hidden_block_count_z
      - .offset:         36
        .size:           2
        .value_kind:     hidden_group_size_x
      - .offset:         38
        .size:           2
        .value_kind:     hidden_group_size_y
      - .offset:         40
        .size:           2
        .value_kind:     hidden_group_size_z
      - .offset:         42
        .size:           2
        .value_kind:     hidden_remainder_x
      - .offset:         44
        .size:           2
        .value_kind:     hidden_remainder_y
      - .offset:         46
        .size:           2
        .value_kind:     hidden_remainder_z
      - .offset:         64
        .size:           8
        .value_kind:     hidden_global_offset_x
      - .offset:         72
        .size:           8
        .value_kind:     hidden_global_offset_y
      - .offset:         80
        .size:           8
        .value_kind:     hidden_global_offset_z
      - .offset:         88
        .size:           2
        .value_kind:     hidden_grid_dims
    .group_segment_fixed_size: 0
    .kernarg_segment_align: 8
    .kernarg_segment_size: 280
    .language:       OpenCL C
    .language_version:
      - 2
      - 0
    .max_flat_workgroup_size: 1024
    .name:           _ZN9rocsolver6v33100L16reset_batch_infoIdiiPdEEvT2_lT0_T1_
    .private_segment_fixed_size: 0
    .sgpr_count:     16
    .sgpr_spill_count: 0
    .symbol:         _ZN9rocsolver6v33100L16reset_batch_infoIdiiPdEEvT2_lT0_T1_.kd
    .uniform_work_group_size: 1
    .uses_dynamic_stack: false
    .vgpr_count:     5
    .vgpr_spill_count: 0
    .wavefront_size: 64
  - .args:
      - .address_space:  global
        .offset:         0
        .size:           8
        .value_kind:     global_buffer
      - .offset:         8
        .size:           8
        .value_kind:     by_value
      - .address_space:  global
        .offset:         16
        .size:           8
        .value_kind:     global_buffer
      - .address_space:  global
        .offset:         24
        .size:           8
        .value_kind:     global_buffer
      - .offset:         32
        .size:           8
        .value_kind:     by_value
      - .offset:         40
        .size:           8
        .value_kind:     by_value
      - .address_space:  global
        .offset:         48
        .size:           8
        .value_kind:     global_buffer
      - .offset:         56
        .size:           8
        .value_kind:     by_value
      - .offset:         64
        .size:           8
        .value_kind:     by_value
    .group_segment_fixed_size: 0
    .kernarg_segment_align: 8
    .kernarg_segment_size: 72
    .language:       OpenCL C
    .language_version:
      - 2
      - 0
    .max_flat_workgroup_size: 1024
    .name:           _ZN9rocsolver6v33100L11set_taubetaIdidPKPdEEvPT_lS6_T2_llPT1_ll
    .private_segment_fixed_size: 0
    .sgpr_count:     28
    .sgpr_spill_count: 0
    .symbol:         _ZN9rocsolver6v33100L11set_taubetaIdidPKPdEEvPT_lS6_T2_llPT1_ll.kd
    .uniform_work_group_size: 1
    .uses_dynamic_stack: false
    .vgpr_count:     14
    .vgpr_spill_count: 0
    .wavefront_size: 64
  - .args:
      - .address_space:  global
        .offset:         0
        .size:           8
        .value_kind:     global_buffer
      - .offset:         8
        .size:           8
        .value_kind:     by_value
      - .offset:         16
        .size:           8
        .value_kind:     by_value
      - .address_space:  global
        .offset:         24
        .size:           8
        .value_kind:     global_buffer
      - .offset:         32
        .size:           8
        .value_kind:     by_value
      - .offset:         40
        .size:           4
        .value_kind:     by_value
      - .offset:         48
        .size:           8
        .value_kind:     by_value
      - .offset:         56
        .size:           4
        .value_kind:     by_value
      - .offset:         60
        .size:           1
        .value_kind:     by_value
      - .offset:         64
        .size:           4
        .value_kind:     hidden_block_count_x
      - .offset:         68
        .size:           4
        .value_kind:     hidden_block_count_y
      - .offset:         72
        .size:           4
        .value_kind:     hidden_block_count_z
      - .offset:         76
        .size:           2
        .value_kind:     hidden_group_size_x
      - .offset:         78
        .size:           2
        .value_kind:     hidden_group_size_y
      - .offset:         80
        .size:           2
        .value_kind:     hidden_group_size_z
      - .offset:         82
        .size:           2
        .value_kind:     hidden_remainder_x
      - .offset:         84
        .size:           2
        .value_kind:     hidden_remainder_y
      - .offset:         86
        .size:           2
        .value_kind:     hidden_remainder_z
      - .offset:         104
        .size:           8
        .value_kind:     hidden_global_offset_x
      - .offset:         112
        .size:           8
        .value_kind:     hidden_global_offset_y
      - .offset:         120
        .size:           8
        .value_kind:     hidden_global_offset_z
      - .offset:         128
        .size:           2
        .value_kind:     hidden_grid_dims
    .group_segment_fixed_size: 0
    .kernarg_segment_align: 8
    .kernarg_segment_size: 320
    .language:       OpenCL C
    .language_version:
      - 2
      - 0
    .max_flat_workgroup_size: 1024
    .name:           _ZN9rocsolver6v33100L8set_diagIdidPKPdTnNSt9enable_ifIXoont18rocblas_is_complexIT_E18rocblas_is_complexIT1_EEiE4typeELi0EEEvPS7_llT2_lT0_lSC_b
    .private_segment_fixed_size: 0
    .sgpr_count:     21
    .sgpr_spill_count: 0
    .symbol:         _ZN9rocsolver6v33100L8set_diagIdidPKPdTnNSt9enable_ifIXoont18rocblas_is_complexIT_E18rocblas_is_complexIT1_EEiE4typeELi0EEEvPS7_llT2_lT0_lSC_b.kd
    .uniform_work_group_size: 1
    .uses_dynamic_stack: false
    .vgpr_count:     8
    .vgpr_spill_count: 0
    .wavefront_size: 64
  - .args:
      - .offset:         0
        .size:           4
        .value_kind:     by_value
      - .offset:         4
        .size:           4
        .value_kind:     by_value
      - .address_space:  global
        .offset:         8
        .size:           8
        .value_kind:     global_buffer
      - .offset:         16
        .size:           8
        .value_kind:     by_value
      - .offset:         24
        .size:           4
        .value_kind:     by_value
      - .offset:         32
        .size:           8
        .value_kind:     by_value
      - .address_space:  global
        .offset:         40
        .size:           8
        .value_kind:     global_buffer
      - .offset:         48
        .size:           8
        .value_kind:     by_value
      - .address_space:  global
        .offset:         56
        .size:           8
        .value_kind:     global_buffer
      - .offset:         64
        .size:           8
        .value_kind:     by_value
      - .offset:         72
        .size:           4
        .value_kind:     by_value
      - .offset:         80
        .size:           8
        .value_kind:     by_value
    .group_segment_fixed_size: 0
    .kernarg_segment_align: 8
    .kernarg_segment_size: 88
    .language:       OpenCL C
    .language_version:
      - 2
      - 0
    .max_flat_workgroup_size: 1024
    .name:           _ZN9rocsolver6v33100L16larf_left_kernelILi1024EdiPKPdEEvT1_S5_T2_lS5_lPKT0_lS6_lS5_l
    .private_segment_fixed_size: 0
    .sgpr_count:     34
    .sgpr_spill_count: 0
    .symbol:         _ZN9rocsolver6v33100L16larf_left_kernelILi1024EdiPKPdEEvT1_S5_T2_lS5_lPKT0_lS6_lS5_l.kd
    .uniform_work_group_size: 1
    .uses_dynamic_stack: false
    .vgpr_count:     12
    .vgpr_spill_count: 0
    .wavefront_size: 64
  - .args:
      - .offset:         0
        .size:           4
        .value_kind:     by_value
      - .offset:         4
        .size:           4
        .value_kind:     by_value
      - .address_space:  global
        .offset:         8
        .size:           8
        .value_kind:     global_buffer
      - .offset:         16
        .size:           8
        .value_kind:     by_value
      - .offset:         24
        .size:           4
        .value_kind:     by_value
      - .offset:         32
        .size:           8
        .value_kind:     by_value
      - .address_space:  global
        .offset:         40
        .size:           8
        .value_kind:     global_buffer
      - .offset:         48
        .size:           8
        .value_kind:     by_value
      - .address_space:  global
        .offset:         56
        .size:           8
        .value_kind:     global_buffer
      - .offset:         64
        .size:           8
        .value_kind:     by_value
      - .offset:         72
        .size:           4
        .value_kind:     by_value
      - .offset:         80
        .size:           8
        .value_kind:     by_value
    .group_segment_fixed_size: 0
    .kernarg_segment_align: 8
    .kernarg_segment_size: 88
    .language:       OpenCL C
    .language_version:
      - 2
      - 0
    .max_flat_workgroup_size: 1024
    .name:           _ZN9rocsolver6v33100L17larf_right_kernelILi1024EdiPKPdEEvT1_S5_T2_lS5_lPKT0_lS6_lS5_l
    .private_segment_fixed_size: 0
    .sgpr_count:     36
    .sgpr_spill_count: 0
    .symbol:         _ZN9rocsolver6v33100L17larf_right_kernelILi1024EdiPKPdEEvT1_S5_T2_lS5_lPKT0_lS6_lS5_l.kd
    .uniform_work_group_size: 1
    .uses_dynamic_stack: false
    .vgpr_count:     15
    .vgpr_spill_count: 0
    .wavefront_size: 64
  - .args:
      - .address_space:  global
        .offset:         0
        .size:           8
        .value_kind:     global_buffer
      - .address_space:  global
        .offset:         8
        .size:           8
        .value_kind:     global_buffer
      - .offset:         16
        .size:           8
        .value_kind:     by_value
      - .offset:         24
        .size:           4
        .value_kind:     by_value
      - .offset:         32
        .size:           4
        .value_kind:     hidden_block_count_x
      - .offset:         36
        .size:           4
        .value_kind:     hidden_block_count_y
      - .offset:         40
        .size:           4
        .value_kind:     hidden_block_count_z
      - .offset:         44
        .size:           2
        .value_kind:     hidden_group_size_x
      - .offset:         46
        .size:           2
        .value_kind:     hidden_group_size_y
      - .offset:         48
        .size:           2
        .value_kind:     hidden_group_size_z
      - .offset:         50
        .size:           2
        .value_kind:     hidden_remainder_x
      - .offset:         52
        .size:           2
        .value_kind:     hidden_remainder_y
      - .offset:         54
        .size:           2
        .value_kind:     hidden_remainder_z
      - .offset:         72
        .size:           8
        .value_kind:     hidden_global_offset_x
      - .offset:         80
        .size:           8
        .value_kind:     hidden_global_offset_y
      - .offset:         88
        .size:           8
        .value_kind:     hidden_global_offset_z
      - .offset:         96
        .size:           2
        .value_kind:     hidden_grid_dims
    .group_segment_fixed_size: 0
    .kernarg_segment_align: 8
    .kernarg_segment_size: 288
    .language:       OpenCL C
    .language_version:
      - 2
      - 0
    .max_flat_workgroup_size: 1024
    .name:           _ZN9rocsolver6v33100L9get_arrayIdiEEvPPT_S3_lT0_
    .private_segment_fixed_size: 0
    .sgpr_count:     12
    .sgpr_spill_count: 0
    .symbol:         _ZN9rocsolver6v33100L9get_arrayIdiEEvPPT_S3_lT0_.kd
    .uniform_work_group_size: 1
    .uses_dynamic_stack: false
    .vgpr_count:     7
    .vgpr_spill_count: 0
    .wavefront_size: 64
  - .args:
      - .address_space:  global
        .offset:         0
        .size:           8
        .value_kind:     global_buffer
      - .offset:         8
        .size:           8
        .value_kind:     by_value
      - .offset:         16
        .size:           8
        .value_kind:     by_value
      - .address_space:  global
        .offset:         24
        .size:           8
        .value_kind:     global_buffer
      - .offset:         32
        .size:           8
        .value_kind:     by_value
      - .offset:         40
        .size:           4
        .value_kind:     by_value
      - .offset:         48
        .size:           8
        .value_kind:     by_value
      - .offset:         56
        .size:           4
        .value_kind:     by_value
      - .offset:         64
        .size:           4
        .value_kind:     hidden_block_count_x
      - .offset:         68
        .size:           4
        .value_kind:     hidden_block_count_y
      - .offset:         72
        .size:           4
        .value_kind:     hidden_block_count_z
      - .offset:         76
        .size:           2
        .value_kind:     hidden_group_size_x
      - .offset:         78
        .size:           2
        .value_kind:     hidden_group_size_y
      - .offset:         80
        .size:           2
        .value_kind:     hidden_group_size_z
      - .offset:         82
        .size:           2
        .value_kind:     hidden_remainder_x
      - .offset:         84
        .size:           2
        .value_kind:     hidden_remainder_y
      - .offset:         86
        .size:           2
        .value_kind:     hidden_remainder_z
      - .offset:         104
        .size:           8
        .value_kind:     hidden_global_offset_x
      - .offset:         112
        .size:           8
        .value_kind:     hidden_global_offset_y
      - .offset:         120
        .size:           8
        .value_kind:     hidden_global_offset_z
      - .offset:         128
        .size:           2
        .value_kind:     hidden_grid_dims
    .group_segment_fixed_size: 0
    .kernarg_segment_align: 8
    .kernarg_segment_size: 320
    .language:       OpenCL C
    .language_version:
      - 2
      - 0
    .max_flat_workgroup_size: 1024
    .name:           _ZN9rocsolver6v33100L12restore_diagIdidPKPdEEvPT1_llT2_lT0_lS8_
    .private_segment_fixed_size: 0
    .sgpr_count:     21
    .sgpr_spill_count: 0
    .symbol:         _ZN9rocsolver6v33100L12restore_diagIdidPKPdEEvPT1_llT2_lT0_lS8_.kd
    .uniform_work_group_size: 1
    .uses_dynamic_stack: false
    .vgpr_count:     5
    .vgpr_spill_count: 0
    .wavefront_size: 64
  - .args:
      - .offset:         0
        .size:           4
        .value_kind:     by_value
      - .offset:         4
        .size:           4
        .value_kind:     by_value
      - .address_space:  global
        .offset:         8
        .size:           8
        .value_kind:     global_buffer
      - .offset:         16
        .size:           4
        .value_kind:     by_value
      - .offset:         20
        .size:           4
        .value_kind:     by_value
      - .offset:         24
        .size:           8
        .value_kind:     by_value
      - .address_space:  global
        .offset:         32
        .size:           8
        .value_kind:     global_buffer
      - .offset:         40
        .size:           8
        .value_kind:     by_value
      - .address_space:  global
        .offset:         48
        .size:           8
        .value_kind:     global_buffer
      - .offset:         56
        .size:           4
        .value_kind:     by_value
      - .offset:         64
        .size:           8
        .value_kind:     by_value
      - .offset:         72
        .size:           4
        .value_kind:     by_value
      - .offset:         76
        .size:           4
        .value_kind:     by_value
      - .offset:         80
        .size:           1
        .value_kind:     by_value
      - .offset:         88
        .size:           4
        .value_kind:     hidden_block_count_x
      - .offset:         92
        .size:           4
        .value_kind:     hidden_block_count_y
      - .offset:         96
        .size:           4
        .value_kind:     hidden_block_count_z
      - .offset:         100
        .size:           2
        .value_kind:     hidden_group_size_x
      - .offset:         102
        .size:           2
        .value_kind:     hidden_group_size_y
      - .offset:         104
        .size:           2
        .value_kind:     hidden_group_size_z
      - .offset:         106
        .size:           2
        .value_kind:     hidden_remainder_x
      - .offset:         108
        .size:           2
        .value_kind:     hidden_remainder_y
      - .offset:         110
        .size:           2
        .value_kind:     hidden_remainder_z
      - .offset:         128
        .size:           8
        .value_kind:     hidden_global_offset_x
      - .offset:         136
        .size:           8
        .value_kind:     hidden_global_offset_y
      - .offset:         144
        .size:           8
        .value_kind:     hidden_global_offset_z
      - .offset:         152
        .size:           2
        .value_kind:     hidden_grid_dims
    .group_segment_fixed_size: 0
    .kernarg_segment_align: 8
    .kernarg_segment_size: 344
    .language:       OpenCL C
    .language_version:
      - 2
      - 0
    .max_flat_workgroup_size: 1024
    .name:           _ZN9rocsolver6v33100L14set_triangularIdPKPdTnNSt9enable_ifIXnt18rocblas_is_complexIT_EEiE4typeELi0EEEviiT0_iilPS6_lSA_il15rocblas_direct_15rocblas_storev_b
    .private_segment_fixed_size: 0
    .sgpr_count:     25
    .sgpr_spill_count: 0
    .symbol:         _ZN9rocsolver6v33100L14set_triangularIdPKPdTnNSt9enable_ifIXnt18rocblas_is_complexIT_EEiE4typeELi0EEEviiT0_iilPS6_lSA_il15rocblas_direct_15rocblas_storev_b.kd
    .uniform_work_group_size: 1
    .uses_dynamic_stack: false
    .vgpr_count:     16
    .vgpr_spill_count: 0
    .wavefront_size: 64
  - .args:
      - .offset:         0
        .size:           4
        .value_kind:     by_value
      - .address_space:  global
        .offset:         8
        .size:           8
        .value_kind:     global_buffer
      - .offset:         16
        .size:           8
        .value_kind:     by_value
      - .offset:         24
        .size:           4
        .value_kind:     hidden_block_count_x
      - .offset:         28
        .size:           4
        .value_kind:     hidden_block_count_y
      - .offset:         32
        .size:           4
        .value_kind:     hidden_block_count_z
      - .offset:         36
        .size:           2
        .value_kind:     hidden_group_size_x
      - .offset:         38
        .size:           2
        .value_kind:     hidden_group_size_y
      - .offset:         40
        .size:           2
        .value_kind:     hidden_group_size_z
      - .offset:         42
        .size:           2
        .value_kind:     hidden_remainder_x
      - .offset:         44
        .size:           2
        .value_kind:     hidden_remainder_y
      - .offset:         46
        .size:           2
        .value_kind:     hidden_remainder_z
      - .offset:         64
        .size:           8
        .value_kind:     hidden_global_offset_x
      - .offset:         72
        .size:           8
        .value_kind:     hidden_global_offset_y
      - .offset:         80
        .size:           8
        .value_kind:     hidden_global_offset_z
      - .offset:         88
        .size:           2
        .value_kind:     hidden_grid_dims
    .group_segment_fixed_size: 0
    .kernarg_segment_align: 8
    .kernarg_segment_size: 280
    .language:       OpenCL C
    .language_version:
      - 2
      - 0
    .max_flat_workgroup_size: 1024
    .name:           _ZN9rocsolver6v33100L7set_tauIdEEviPT_l
    .private_segment_fixed_size: 0
    .sgpr_count:     12
    .sgpr_spill_count: 0
    .symbol:         _ZN9rocsolver6v33100L7set_tauIdEEviPT_l.kd
    .uniform_work_group_size: 1
    .uses_dynamic_stack: false
    .vgpr_count:     4
    .vgpr_spill_count: 0
    .wavefront_size: 64
  - .args:
      - .offset:         0
        .size:           4
        .value_kind:     by_value
      - .offset:         4
        .size:           4
        .value_kind:     by_value
      - .offset:         8
        .size:           4
        .value_kind:     by_value
      - .address_space:  global
        .offset:         16
        .size:           8
        .value_kind:     global_buffer
      - .offset:         24
        .size:           4
        .value_kind:     by_value
      - .offset:         28
        .size:           4
        .value_kind:     by_value
      - .offset:         32
        .size:           8
        .value_kind:     by_value
      - .address_space:  global
        .offset:         40
        .size:           8
        .value_kind:     global_buffer
      - .offset:         48
        .size:           8
        .value_kind:     by_value
      - .address_space:  global
        .offset:         56
        .size:           8
        .value_kind:     global_buffer
      - .offset:         64
        .size:           4
        .value_kind:     by_value
      - .offset:         72
        .size:           8
        .value_kind:     by_value
      - .offset:         80
        .size:           4
        .value_kind:     hidden_block_count_x
      - .offset:         84
        .size:           4
        .value_kind:     hidden_block_count_y
      - .offset:         88
        .size:           4
        .value_kind:     hidden_block_count_z
      - .offset:         92
        .size:           2
        .value_kind:     hidden_group_size_x
      - .offset:         94
        .size:           2
        .value_kind:     hidden_group_size_y
      - .offset:         96
        .size:           2
        .value_kind:     hidden_group_size_z
      - .offset:         98
        .size:           2
        .value_kind:     hidden_remainder_x
      - .offset:         100
        .size:           2
        .value_kind:     hidden_remainder_y
      - .offset:         102
        .size:           2
        .value_kind:     hidden_remainder_z
      - .offset:         120
        .size:           8
        .value_kind:     hidden_global_offset_x
      - .offset:         128
        .size:           8
        .value_kind:     hidden_global_offset_y
      - .offset:         136
        .size:           8
        .value_kind:     hidden_global_offset_z
      - .offset:         144
        .size:           2
        .value_kind:     hidden_grid_dims
      - .offset:         200
        .size:           4
        .value_kind:     hidden_dynamic_lds_size
    .group_segment_fixed_size: 0
    .kernarg_segment_align: 8
    .kernarg_segment_size: 336
    .language:       OpenCL C
    .language_version:
      - 2
      - 0
    .max_flat_workgroup_size: 1024
    .name:           _ZN9rocsolver6v33100L20larft_kernel_forwardIdPKPdEEv15rocblas_storev_iiT0_iilPT_lS8_il
    .private_segment_fixed_size: 0
    .sgpr_count:     54
    .sgpr_spill_count: 0
    .symbol:         _ZN9rocsolver6v33100L20larft_kernel_forwardIdPKPdEEv15rocblas_storev_iiT0_iilPT_lS8_il.kd
    .uniform_work_group_size: 1
    .uses_dynamic_stack: false
    .vgpr_count:     20
    .vgpr_spill_count: 0
    .wavefront_size: 64
  - .args:
      - .offset:         0
        .size:           4
        .value_kind:     by_value
      - .offset:         4
        .size:           4
        .value_kind:     by_value
      - .offset:         8
        .size:           4
        .value_kind:     by_value
      - .address_space:  global
        .offset:         16
        .size:           8
        .value_kind:     global_buffer
      - .offset:         24
        .size:           4
        .value_kind:     by_value
      - .offset:         28
        .size:           4
        .value_kind:     by_value
      - .offset:         32
        .size:           8
        .value_kind:     by_value
      - .address_space:  global
        .offset:         40
        .size:           8
        .value_kind:     global_buffer
      - .offset:         48
        .size:           8
        .value_kind:     by_value
      - .address_space:  global
        .offset:         56
        .size:           8
        .value_kind:     global_buffer
      - .offset:         64
        .size:           4
        .value_kind:     by_value
      - .offset:         72
        .size:           8
        .value_kind:     by_value
      - .offset:         80
        .size:           4
        .value_kind:     hidden_block_count_x
      - .offset:         84
        .size:           4
        .value_kind:     hidden_block_count_y
      - .offset:         88
        .size:           4
        .value_kind:     hidden_block_count_z
      - .offset:         92
        .size:           2
        .value_kind:     hidden_group_size_x
      - .offset:         94
        .size:           2
        .value_kind:     hidden_group_size_y
      - .offset:         96
        .size:           2
        .value_kind:     hidden_group_size_z
      - .offset:         98
        .size:           2
        .value_kind:     hidden_remainder_x
      - .offset:         100
        .size:           2
        .value_kind:     hidden_remainder_y
      - .offset:         102
        .size:           2
        .value_kind:     hidden_remainder_z
      - .offset:         120
        .size:           8
        .value_kind:     hidden_global_offset_x
      - .offset:         128
        .size:           8
        .value_kind:     hidden_global_offset_y
      - .offset:         136
        .size:           8
        .value_kind:     hidden_global_offset_z
      - .offset:         144
        .size:           2
        .value_kind:     hidden_grid_dims
      - .offset:         200
        .size:           4
        .value_kind:     hidden_dynamic_lds_size
    .group_segment_fixed_size: 0
    .kernarg_segment_align: 8
    .kernarg_segment_size: 336
    .language:       OpenCL C
    .language_version:
      - 2
      - 0
    .max_flat_workgroup_size: 1024
    .name:           _ZN9rocsolver6v33100L21larft_kernel_backwardIdPKPdEEv15rocblas_storev_iiT0_iilPT_lS8_il
    .private_segment_fixed_size: 0
    .sgpr_count:     52
    .sgpr_spill_count: 0
    .symbol:         _ZN9rocsolver6v33100L21larft_kernel_backwardIdPKPdEEv15rocblas_storev_iiT0_iilPT_lS8_il.kd
    .uniform_work_group_size: 1
    .uses_dynamic_stack: false
    .vgpr_count:     16
    .vgpr_spill_count: 0
    .wavefront_size: 64
  - .args:
      - .offset:         0
        .size:           4
        .value_kind:     by_value
      - .offset:         4
        .size:           4
        .value_kind:     by_value
      - .address_space:  global
        .offset:         8
        .size:           8
        .value_kind:     global_buffer
      - .offset:         16
        .size:           4
        .value_kind:     by_value
      - .offset:         20
        .size:           4
        .value_kind:     by_value
      - .offset:         24
        .size:           8
        .value_kind:     by_value
      - .address_space:  global
        .offset:         32
        .size:           8
        .value_kind:     global_buffer
      - .offset:         40
        .size:           4
        .value_kind:     hidden_block_count_x
      - .offset:         44
        .size:           4
        .value_kind:     hidden_block_count_y
      - .offset:         48
        .size:           4
        .value_kind:     hidden_block_count_z
      - .offset:         52
        .size:           2
        .value_kind:     hidden_group_size_x
      - .offset:         54
        .size:           2
        .value_kind:     hidden_group_size_y
      - .offset:         56
        .size:           2
        .value_kind:     hidden_group_size_z
      - .offset:         58
        .size:           2
        .value_kind:     hidden_remainder_x
      - .offset:         60
        .size:           2
        .value_kind:     hidden_remainder_y
      - .offset:         62
        .size:           2
        .value_kind:     hidden_remainder_z
      - .offset:         80
        .size:           8
        .value_kind:     hidden_global_offset_x
      - .offset:         88
        .size:           8
        .value_kind:     hidden_global_offset_y
      - .offset:         96
        .size:           8
        .value_kind:     hidden_global_offset_z
      - .offset:         104
        .size:           2
        .value_kind:     hidden_grid_dims
    .group_segment_fixed_size: 0
    .kernarg_segment_align: 8
    .kernarg_segment_size: 296
    .language:       OpenCL C
    .language_version:
      - 2
      - 0
    .max_flat_workgroup_size: 1024
    .name:           _ZN9rocsolver6v33100L9copymatA1IdPKPdEEviiT0_iilPT_
    .private_segment_fixed_size: 0
    .sgpr_count:     20
    .sgpr_spill_count: 0
    .symbol:         _ZN9rocsolver6v33100L9copymatA1IdPKPdEEviiT0_iilPT_.kd
    .uniform_work_group_size: 1
    .uses_dynamic_stack: false
    .vgpr_count:     7
    .vgpr_spill_count: 0
    .wavefront_size: 64
  - .args:
      - .offset:         0
        .size:           4
        .value_kind:     by_value
      - .offset:         4
        .size:           4
        .value_kind:     by_value
      - .address_space:  global
        .offset:         8
        .size:           8
        .value_kind:     global_buffer
      - .offset:         16
        .size:           4
        .value_kind:     by_value
      - .offset:         20
        .size:           4
        .value_kind:     by_value
      - .offset:         24
        .size:           8
        .value_kind:     by_value
      - .address_space:  global
        .offset:         32
        .size:           8
        .value_kind:     global_buffer
      - .offset:         40
        .size:           4
        .value_kind:     hidden_block_count_x
      - .offset:         44
        .size:           4
        .value_kind:     hidden_block_count_y
      - .offset:         48
        .size:           4
        .value_kind:     hidden_block_count_z
      - .offset:         52
        .size:           2
        .value_kind:     hidden_group_size_x
      - .offset:         54
        .size:           2
        .value_kind:     hidden_group_size_y
      - .offset:         56
        .size:           2
        .value_kind:     hidden_group_size_z
      - .offset:         58
        .size:           2
        .value_kind:     hidden_remainder_x
      - .offset:         60
        .size:           2
        .value_kind:     hidden_remainder_y
      - .offset:         62
        .size:           2
        .value_kind:     hidden_remainder_z
      - .offset:         80
        .size:           8
        .value_kind:     hidden_global_offset_x
      - .offset:         88
        .size:           8
        .value_kind:     hidden_global_offset_y
      - .offset:         96
        .size:           8
        .value_kind:     hidden_global_offset_z
      - .offset:         104
        .size:           2
        .value_kind:     hidden_grid_dims
    .group_segment_fixed_size: 0
    .kernarg_segment_align: 8
    .kernarg_segment_size: 296
    .language:       OpenCL C
    .language_version:
      - 2
      - 0
    .max_flat_workgroup_size: 1024
    .name:           _ZN9rocsolver6v33100L8addmatA1IdPKPdEEviiT0_iilPT_
    .private_segment_fixed_size: 0
    .sgpr_count:     18
    .sgpr_spill_count: 0
    .symbol:         _ZN9rocsolver6v33100L8addmatA1IdPKPdEEviiT0_iilPT_.kd
    .uniform_work_group_size: 1
    .uses_dynamic_stack: false
    .vgpr_count:     7
    .vgpr_spill_count: 0
    .wavefront_size: 64
  - .args:
      - .address_space:  global
        .offset:         0
        .size:           8
        .value_kind:     global_buffer
      - .offset:         8
        .size:           4
        .value_kind:     by_value
      - .offset:         12
        .size:           8
        .value_kind:     by_value
    .group_segment_fixed_size: 0
    .kernarg_segment_align: 8
    .kernarg_segment_size: 20
    .language:       OpenCL C
    .language_version:
      - 2
      - 0
    .max_flat_workgroup_size: 32
    .name:           _ZN9rocsolver6v33100L6iota_nI19rocblas_complex_numIfEEEvPT_jS4_
    .private_segment_fixed_size: 0
    .sgpr_count:     10
    .sgpr_spill_count: 0
    .symbol:         _ZN9rocsolver6v33100L6iota_nI19rocblas_complex_numIfEEEvPT_jS4_.kd
    .uniform_work_group_size: 1
    .uses_dynamic_stack: false
    .vgpr_count:     3
    .vgpr_spill_count: 0
    .wavefront_size: 64
  - .args:
      - .offset:         0
        .size:           4
        .value_kind:     by_value
      - .offset:         4
        .size:           4
        .value_kind:     by_value
      - .address_space:  global
        .offset:         8
        .size:           8
        .value_kind:     global_buffer
      - .offset:         16
        .size:           8
        .value_kind:     by_value
      - .offset:         24
        .size:           4
        .value_kind:     by_value
      - .offset:         32
        .size:           8
        .value_kind:     by_value
      - .offset:         40
        .size:           4
        .value_kind:     hidden_block_count_x
      - .offset:         44
        .size:           4
        .value_kind:     hidden_block_count_y
      - .offset:         48
        .size:           4
        .value_kind:     hidden_block_count_z
      - .offset:         52
        .size:           2
        .value_kind:     hidden_group_size_x
      - .offset:         54
        .size:           2
        .value_kind:     hidden_group_size_y
      - .offset:         56
        .size:           2
        .value_kind:     hidden_group_size_z
      - .offset:         58
        .size:           2
        .value_kind:     hidden_remainder_x
      - .offset:         60
        .size:           2
        .value_kind:     hidden_remainder_y
      - .offset:         62
        .size:           2
        .value_kind:     hidden_remainder_z
      - .offset:         80
        .size:           8
        .value_kind:     hidden_global_offset_x
      - .offset:         88
        .size:           8
        .value_kind:     hidden_global_offset_y
      - .offset:         96
        .size:           8
        .value_kind:     hidden_global_offset_z
      - .offset:         104
        .size:           2
        .value_kind:     hidden_grid_dims
    .group_segment_fixed_size: 0
    .kernarg_segment_align: 8
    .kernarg_segment_size: 296
    .language:       OpenCL C
    .language_version:
      - 2
      - 0
    .max_flat_workgroup_size: 1024
    .name:           _ZN9rocsolver6v33100L13conj_in_placeI19rocblas_complex_numIfEiPKPS3_TnNSt9enable_ifIX18rocblas_is_complexIT_EEiE4typeELi0EEEvT0_SB_T1_lSB_l
    .private_segment_fixed_size: 0
    .sgpr_count:     14
    .sgpr_spill_count: 0
    .symbol:         _ZN9rocsolver6v33100L13conj_in_placeI19rocblas_complex_numIfEiPKPS3_TnNSt9enable_ifIX18rocblas_is_complexIT_EEiE4typeELi0EEEvT0_SB_T1_lSB_l.kd
    .uniform_work_group_size: 1
    .uses_dynamic_stack: false
    .vgpr_count:     7
    .vgpr_spill_count: 0
    .wavefront_size: 64
  - .args:
      - .address_space:  global
        .offset:         0
        .size:           8
        .value_kind:     global_buffer
      - .offset:         8
        .size:           8
        .value_kind:     by_value
      - .offset:         16
        .size:           4
        .value_kind:     by_value
      - .offset:         20
        .size:           4
        .value_kind:     by_value
      - .offset:         24
        .size:           4
        .value_kind:     hidden_block_count_x
      - .offset:         28
        .size:           4
        .value_kind:     hidden_block_count_y
      - .offset:         32
        .size:           4
        .value_kind:     hidden_block_count_z
      - .offset:         36
        .size:           2
        .value_kind:     hidden_group_size_x
      - .offset:         38
        .size:           2
        .value_kind:     hidden_group_size_y
      - .offset:         40
        .size:           2
        .value_kind:     hidden_group_size_z
      - .offset:         42
        .size:           2
        .value_kind:     hidden_remainder_x
      - .offset:         44
        .size:           2
        .value_kind:     hidden_remainder_y
      - .offset:         46
        .size:           2
        .value_kind:     hidden_remainder_z
      - .offset:         64
        .size:           8
        .value_kind:     hidden_global_offset_x
      - .offset:         72
        .size:           8
        .value_kind:     hidden_global_offset_y
      - .offset:         80
        .size:           8
        .value_kind:     hidden_global_offset_z
      - .offset:         88
        .size:           2
        .value_kind:     hidden_grid_dims
    .group_segment_fixed_size: 0
    .kernarg_segment_align: 8
    .kernarg_segment_size: 280
    .language:       OpenCL C
    .language_version:
      - 2
      - 0
    .max_flat_workgroup_size: 1024
    .name:           _ZN9rocsolver6v33100L16reset_batch_infoI19rocblas_complex_numIfEiiPS3_EEvT2_lT0_T1_
    .private_segment_fixed_size: 0
    .sgpr_count:     16
    .sgpr_spill_count: 0
    .symbol:         _ZN9rocsolver6v33100L16reset_batch_infoI19rocblas_complex_numIfEiiPS3_EEvT2_lT0_T1_.kd
    .uniform_work_group_size: 1
    .uses_dynamic_stack: false
    .vgpr_count:     4
    .vgpr_spill_count: 0
    .wavefront_size: 64
  - .args:
      - .address_space:  global
        .offset:         0
        .size:           8
        .value_kind:     global_buffer
      - .offset:         8
        .size:           8
        .value_kind:     by_value
      - .offset:         16
        .size:           8
        .value_kind:     by_value
      - .address_space:  global
        .offset:         24
        .size:           8
        .value_kind:     global_buffer
      - .offset:         32
        .size:           8
        .value_kind:     by_value
      - .offset:         40
        .size:           4
        .value_kind:     by_value
      - .offset:         48
        .size:           8
        .value_kind:     by_value
      - .offset:         56
        .size:           4
        .value_kind:     by_value
      - .offset:         60
        .size:           1
        .value_kind:     by_value
      - .offset:         64
        .size:           4
        .value_kind:     hidden_block_count_x
      - .offset:         68
        .size:           4
        .value_kind:     hidden_block_count_y
      - .offset:         72
        .size:           4
        .value_kind:     hidden_block_count_z
      - .offset:         76
        .size:           2
        .value_kind:     hidden_group_size_x
      - .offset:         78
        .size:           2
        .value_kind:     hidden_group_size_y
      - .offset:         80
        .size:           2
        .value_kind:     hidden_group_size_z
      - .offset:         82
        .size:           2
        .value_kind:     hidden_remainder_x
      - .offset:         84
        .size:           2
        .value_kind:     hidden_remainder_y
      - .offset:         86
        .size:           2
        .value_kind:     hidden_remainder_z
      - .offset:         104
        .size:           8
        .value_kind:     hidden_global_offset_x
      - .offset:         112
        .size:           8
        .value_kind:     hidden_global_offset_y
      - .offset:         120
        .size:           8
        .value_kind:     hidden_global_offset_z
      - .offset:         128
        .size:           2
        .value_kind:     hidden_grid_dims
    .group_segment_fixed_size: 0
    .kernarg_segment_align: 8
    .kernarg_segment_size: 320
    .language:       OpenCL C
    .language_version:
      - 2
      - 0
    .max_flat_workgroup_size: 1024
    .name:           _ZN9rocsolver6v33100L8set_diagI19rocblas_complex_numIfEifPKPS3_TnNSt9enable_ifIXaa18rocblas_is_complexIT_Ent18rocblas_is_complexIT1_EEiE4typeELi0EEEvPS9_llT2_lT0_lSE_b
    .private_segment_fixed_size: 0
    .sgpr_count:     21
    .sgpr_spill_count: 0
    .symbol:         _ZN9rocsolver6v33100L8set_diagI19rocblas_complex_numIfEifPKPS3_TnNSt9enable_ifIXaa18rocblas_is_complexIT_Ent18rocblas_is_complexIT1_EEiE4typeELi0EEEvPS9_llT2_lT0_lSE_b.kd
    .uniform_work_group_size: 1
    .uses_dynamic_stack: false
    .vgpr_count:     6
    .vgpr_spill_count: 0
    .wavefront_size: 64
  - .args:
      - .address_space:  global
        .offset:         0
        .size:           8
        .value_kind:     global_buffer
      - .offset:         8
        .size:           8
        .value_kind:     by_value
      - .address_space:  global
        .offset:         16
        .size:           8
        .value_kind:     global_buffer
      - .address_space:  global
        .offset:         24
        .size:           8
        .value_kind:     global_buffer
      - .offset:         32
        .size:           8
        .value_kind:     by_value
      - .offset:         40
        .size:           8
        .value_kind:     by_value
      - .address_space:  global
        .offset:         48
        .size:           8
        .value_kind:     global_buffer
      - .offset:         56
        .size:           8
        .value_kind:     by_value
      - .offset:         64
        .size:           8
        .value_kind:     by_value
    .group_segment_fixed_size: 0
    .kernarg_segment_align: 8
    .kernarg_segment_size: 72
    .language:       OpenCL C
    .language_version:
      - 2
      - 0
    .max_flat_workgroup_size: 1024
    .name:           _ZN9rocsolver6v33100L11set_taubetaI19rocblas_complex_numIfEifPKPS3_EEvPT_lS8_T2_llPT1_ll
    .private_segment_fixed_size: 0
    .sgpr_count:     28
    .sgpr_spill_count: 0
    .symbol:         _ZN9rocsolver6v33100L11set_taubetaI19rocblas_complex_numIfEifPKPS3_EEvPT_lS8_T2_llPT1_ll.kd
    .uniform_work_group_size: 1
    .uses_dynamic_stack: false
    .vgpr_count:     21
    .vgpr_spill_count: 0
    .wavefront_size: 64
  - .args:
      - .address_space:  global
        .offset:         0
        .size:           8
        .value_kind:     global_buffer
      - .offset:         8
        .size:           8
        .value_kind:     by_value
      - .offset:         16
        .size:           8
        .value_kind:     by_value
      - .address_space:  global
        .offset:         24
        .size:           8
        .value_kind:     global_buffer
      - .offset:         32
        .size:           8
        .value_kind:     by_value
      - .offset:         40
        .size:           4
        .value_kind:     by_value
      - .offset:         48
        .size:           8
        .value_kind:     by_value
      - .offset:         56
        .size:           4
        .value_kind:     by_value
      - .offset:         60
        .size:           1
        .value_kind:     by_value
      - .offset:         64
        .size:           4
        .value_kind:     hidden_block_count_x
      - .offset:         68
        .size:           4
        .value_kind:     hidden_block_count_y
      - .offset:         72
        .size:           4
        .value_kind:     hidden_block_count_z
      - .offset:         76
        .size:           2
        .value_kind:     hidden_group_size_x
      - .offset:         78
        .size:           2
        .value_kind:     hidden_group_size_y
      - .offset:         80
        .size:           2
        .value_kind:     hidden_group_size_z
      - .offset:         82
        .size:           2
        .value_kind:     hidden_remainder_x
      - .offset:         84
        .size:           2
        .value_kind:     hidden_remainder_y
      - .offset:         86
        .size:           2
        .value_kind:     hidden_remainder_z
      - .offset:         104
        .size:           8
        .value_kind:     hidden_global_offset_x
      - .offset:         112
        .size:           8
        .value_kind:     hidden_global_offset_y
      - .offset:         120
        .size:           8
        .value_kind:     hidden_global_offset_z
      - .offset:         128
        .size:           2
        .value_kind:     hidden_grid_dims
    .group_segment_fixed_size: 0
    .kernarg_segment_align: 8
    .kernarg_segment_size: 320
    .language:       OpenCL C
    .language_version:
      - 2
      - 0
    .max_flat_workgroup_size: 1024
    .name:           _ZN9rocsolver6v33100L8set_diagI19rocblas_complex_numIfEiS3_PKPS3_TnNSt9enable_ifIXoont18rocblas_is_complexIT_E18rocblas_is_complexIT1_EEiE4typeELi0EEEvPS9_llT2_lT0_lSE_b
    .private_segment_fixed_size: 0
    .sgpr_count:     21
    .sgpr_spill_count: 0
    .symbol:         _ZN9rocsolver6v33100L8set_diagI19rocblas_complex_numIfEiS3_PKPS3_TnNSt9enable_ifIXoont18rocblas_is_complexIT_E18rocblas_is_complexIT1_EEiE4typeELi0EEEvPS9_llT2_lT0_lSE_b.kd
    .uniform_work_group_size: 1
    .uses_dynamic_stack: false
    .vgpr_count:     7
    .vgpr_spill_count: 0
    .wavefront_size: 64
  - .args:
      - .offset:         0
        .size:           4
        .value_kind:     by_value
      - .offset:         4
        .size:           4
        .value_kind:     by_value
      - .address_space:  global
        .offset:         8
        .size:           8
        .value_kind:     global_buffer
      - .offset:         16
        .size:           8
        .value_kind:     by_value
      - .offset:         24
        .size:           4
        .value_kind:     by_value
      - .offset:         32
        .size:           8
        .value_kind:     by_value
      - .address_space:  global
        .offset:         40
        .size:           8
        .value_kind:     global_buffer
      - .offset:         48
        .size:           8
        .value_kind:     by_value
      - .address_space:  global
        .offset:         56
        .size:           8
        .value_kind:     global_buffer
      - .offset:         64
        .size:           8
        .value_kind:     by_value
      - .offset:         72
        .size:           4
        .value_kind:     by_value
      - .offset:         80
        .size:           8
        .value_kind:     by_value
    .group_segment_fixed_size: 0
    .kernarg_segment_align: 8
    .kernarg_segment_size: 88
    .language:       OpenCL C
    .language_version:
      - 2
      - 0
    .max_flat_workgroup_size: 1024
    .name:           _ZN9rocsolver6v33100L16larf_left_kernelILi1024E19rocblas_complex_numIfEiPKPS3_EEvT1_S7_T2_lS7_lPKT0_lS8_lS7_l
    .private_segment_fixed_size: 0
    .sgpr_count:     34
    .sgpr_spill_count: 0
    .symbol:         _ZN9rocsolver6v33100L16larf_left_kernelILi1024E19rocblas_complex_numIfEiPKPS3_EEvT1_S7_T2_lS7_lPKT0_lS8_lS7_l.kd
    .uniform_work_group_size: 1
    .uses_dynamic_stack: false
    .vgpr_count:     16
    .vgpr_spill_count: 0
    .wavefront_size: 64
  - .args:
      - .offset:         0
        .size:           4
        .value_kind:     by_value
      - .offset:         4
        .size:           4
        .value_kind:     by_value
      - .address_space:  global
        .offset:         8
        .size:           8
        .value_kind:     global_buffer
      - .offset:         16
        .size:           8
        .value_kind:     by_value
      - .offset:         24
        .size:           4
        .value_kind:     by_value
      - .offset:         32
        .size:           8
        .value_kind:     by_value
      - .address_space:  global
        .offset:         40
        .size:           8
        .value_kind:     global_buffer
      - .offset:         48
        .size:           8
        .value_kind:     by_value
      - .address_space:  global
        .offset:         56
        .size:           8
        .value_kind:     global_buffer
      - .offset:         64
        .size:           8
        .value_kind:     by_value
      - .offset:         72
        .size:           4
        .value_kind:     by_value
      - .offset:         80
        .size:           8
        .value_kind:     by_value
    .group_segment_fixed_size: 0
    .kernarg_segment_align: 8
    .kernarg_segment_size: 88
    .language:       OpenCL C
    .language_version:
      - 2
      - 0
    .max_flat_workgroup_size: 1024
    .name:           _ZN9rocsolver6v33100L17larf_right_kernelILi1024E19rocblas_complex_numIfEiPKPS3_EEvT1_S7_T2_lS7_lPKT0_lS8_lS7_l
    .private_segment_fixed_size: 0
    .sgpr_count:     34
    .sgpr_spill_count: 0
    .symbol:         _ZN9rocsolver6v33100L17larf_right_kernelILi1024E19rocblas_complex_numIfEiPKPS3_EEvT1_S7_T2_lS7_lPKT0_lS8_lS7_l.kd
    .uniform_work_group_size: 1
    .uses_dynamic_stack: false
    .vgpr_count:     17
    .vgpr_spill_count: 0
    .wavefront_size: 64
  - .args:
      - .address_space:  global
        .offset:         0
        .size:           8
        .value_kind:     global_buffer
      - .address_space:  global
        .offset:         8
        .size:           8
        .value_kind:     global_buffer
      - .offset:         16
        .size:           8
        .value_kind:     by_value
      - .offset:         24
        .size:           4
        .value_kind:     by_value
      - .offset:         32
        .size:           4
        .value_kind:     hidden_block_count_x
      - .offset:         36
        .size:           4
        .value_kind:     hidden_block_count_y
      - .offset:         40
        .size:           4
        .value_kind:     hidden_block_count_z
      - .offset:         44
        .size:           2
        .value_kind:     hidden_group_size_x
      - .offset:         46
        .size:           2
        .value_kind:     hidden_group_size_y
      - .offset:         48
        .size:           2
        .value_kind:     hidden_group_size_z
      - .offset:         50
        .size:           2
        .value_kind:     hidden_remainder_x
      - .offset:         52
        .size:           2
        .value_kind:     hidden_remainder_y
      - .offset:         54
        .size:           2
        .value_kind:     hidden_remainder_z
      - .offset:         72
        .size:           8
        .value_kind:     hidden_global_offset_x
      - .offset:         80
        .size:           8
        .value_kind:     hidden_global_offset_y
      - .offset:         88
        .size:           8
        .value_kind:     hidden_global_offset_z
      - .offset:         96
        .size:           2
        .value_kind:     hidden_grid_dims
    .group_segment_fixed_size: 0
    .kernarg_segment_align: 8
    .kernarg_segment_size: 288
    .language:       OpenCL C
    .language_version:
      - 2
      - 0
    .max_flat_workgroup_size: 1024
    .name:           _ZN9rocsolver6v33100L9get_arrayI19rocblas_complex_numIfEiEEvPPT_S5_lT0_
    .private_segment_fixed_size: 0
    .sgpr_count:     12
    .sgpr_spill_count: 0
    .symbol:         _ZN9rocsolver6v33100L9get_arrayI19rocblas_complex_numIfEiEEvPPT_S5_lT0_.kd
    .uniform_work_group_size: 1
    .uses_dynamic_stack: false
    .vgpr_count:     7
    .vgpr_spill_count: 0
    .wavefront_size: 64
  - .args:
      - .address_space:  global
        .offset:         0
        .size:           8
        .value_kind:     global_buffer
      - .offset:         8
        .size:           8
        .value_kind:     by_value
      - .offset:         16
        .size:           8
        .value_kind:     by_value
      - .address_space:  global
        .offset:         24
        .size:           8
        .value_kind:     global_buffer
      - .offset:         32
        .size:           8
        .value_kind:     by_value
      - .offset:         40
        .size:           4
        .value_kind:     by_value
      - .offset:         48
        .size:           8
        .value_kind:     by_value
      - .offset:         56
        .size:           4
        .value_kind:     by_value
      - .offset:         64
        .size:           4
        .value_kind:     hidden_block_count_x
      - .offset:         68
        .size:           4
        .value_kind:     hidden_block_count_y
      - .offset:         72
        .size:           4
        .value_kind:     hidden_block_count_z
      - .offset:         76
        .size:           2
        .value_kind:     hidden_group_size_x
      - .offset:         78
        .size:           2
        .value_kind:     hidden_group_size_y
      - .offset:         80
        .size:           2
        .value_kind:     hidden_group_size_z
      - .offset:         82
        .size:           2
        .value_kind:     hidden_remainder_x
      - .offset:         84
        .size:           2
        .value_kind:     hidden_remainder_y
      - .offset:         86
        .size:           2
        .value_kind:     hidden_remainder_z
      - .offset:         104
        .size:           8
        .value_kind:     hidden_global_offset_x
      - .offset:         112
        .size:           8
        .value_kind:     hidden_global_offset_y
      - .offset:         120
        .size:           8
        .value_kind:     hidden_global_offset_z
      - .offset:         128
        .size:           2
        .value_kind:     hidden_grid_dims
    .group_segment_fixed_size: 0
    .kernarg_segment_align: 8
    .kernarg_segment_size: 320
    .language:       OpenCL C
    .language_version:
      - 2
      - 0
    .max_flat_workgroup_size: 1024
    .name:           _ZN9rocsolver6v33100L12restore_diagI19rocblas_complex_numIfEiS3_PKPS3_EEvPT1_llT2_lT0_lSA_
    .private_segment_fixed_size: 0
    .sgpr_count:     21
    .sgpr_spill_count: 0
    .symbol:         _ZN9rocsolver6v33100L12restore_diagI19rocblas_complex_numIfEiS3_PKPS3_EEvPT1_llT2_lT0_lSA_.kd
    .uniform_work_group_size: 1
    .uses_dynamic_stack: false
    .vgpr_count:     5
    .vgpr_spill_count: 0
    .wavefront_size: 64
  - .args:
      - .offset:         0
        .size:           4
        .value_kind:     by_value
      - .offset:         4
        .size:           4
        .value_kind:     by_value
      - .address_space:  global
        .offset:         8
        .size:           8
        .value_kind:     global_buffer
      - .offset:         16
        .size:           4
        .value_kind:     by_value
      - .offset:         20
        .size:           4
        .value_kind:     by_value
      - .offset:         24
        .size:           8
        .value_kind:     by_value
      - .address_space:  global
        .offset:         32
        .size:           8
        .value_kind:     global_buffer
      - .offset:         40
        .size:           8
        .value_kind:     by_value
      - .address_space:  global
        .offset:         48
        .size:           8
        .value_kind:     global_buffer
      - .offset:         56
        .size:           4
        .value_kind:     by_value
      - .offset:         64
        .size:           8
        .value_kind:     by_value
      - .offset:         72
        .size:           4
        .value_kind:     by_value
      - .offset:         76
        .size:           4
        .value_kind:     by_value
      - .offset:         80
        .size:           1
        .value_kind:     by_value
      - .offset:         88
        .size:           4
        .value_kind:     hidden_block_count_x
      - .offset:         92
        .size:           4
        .value_kind:     hidden_block_count_y
      - .offset:         96
        .size:           4
        .value_kind:     hidden_block_count_z
      - .offset:         100
        .size:           2
        .value_kind:     hidden_group_size_x
      - .offset:         102
        .size:           2
        .value_kind:     hidden_group_size_y
      - .offset:         104
        .size:           2
        .value_kind:     hidden_group_size_z
      - .offset:         106
        .size:           2
        .value_kind:     hidden_remainder_x
      - .offset:         108
        .size:           2
        .value_kind:     hidden_remainder_y
      - .offset:         110
        .size:           2
        .value_kind:     hidden_remainder_z
      - .offset:         128
        .size:           8
        .value_kind:     hidden_global_offset_x
      - .offset:         136
        .size:           8
        .value_kind:     hidden_global_offset_y
      - .offset:         144
        .size:           8
        .value_kind:     hidden_global_offset_z
      - .offset:         152
        .size:           2
        .value_kind:     hidden_grid_dims
    .group_segment_fixed_size: 0
    .kernarg_segment_align: 8
    .kernarg_segment_size: 344
    .language:       OpenCL C
    .language_version:
      - 2
      - 0
    .max_flat_workgroup_size: 1024
    .name:           _ZN9rocsolver6v33100L14set_triangularI19rocblas_complex_numIfEPKPS3_TnNSt9enable_ifIX18rocblas_is_complexIT_EEiE4typeELi0EEEviiT0_iilPS8_lSC_il15rocblas_direct_15rocblas_storev_b
    .private_segment_fixed_size: 0
    .sgpr_count:     25
    .sgpr_spill_count: 0
    .symbol:         _ZN9rocsolver6v33100L14set_triangularI19rocblas_complex_numIfEPKPS3_TnNSt9enable_ifIX18rocblas_is_complexIT_EEiE4typeELi0EEEviiT0_iilPS8_lSC_il15rocblas_direct_15rocblas_storev_b.kd
    .uniform_work_group_size: 1
    .uses_dynamic_stack: false
    .vgpr_count:     16
    .vgpr_spill_count: 0
    .wavefront_size: 64
  - .args:
      - .offset:         0
        .size:           4
        .value_kind:     by_value
      - .address_space:  global
        .offset:         8
        .size:           8
        .value_kind:     global_buffer
      - .offset:         16
        .size:           8
        .value_kind:     by_value
      - .offset:         24
        .size:           4
        .value_kind:     hidden_block_count_x
      - .offset:         28
        .size:           4
        .value_kind:     hidden_block_count_y
      - .offset:         32
        .size:           4
        .value_kind:     hidden_block_count_z
      - .offset:         36
        .size:           2
        .value_kind:     hidden_group_size_x
      - .offset:         38
        .size:           2
        .value_kind:     hidden_group_size_y
      - .offset:         40
        .size:           2
        .value_kind:     hidden_group_size_z
      - .offset:         42
        .size:           2
        .value_kind:     hidden_remainder_x
      - .offset:         44
        .size:           2
        .value_kind:     hidden_remainder_y
      - .offset:         46
        .size:           2
        .value_kind:     hidden_remainder_z
      - .offset:         64
        .size:           8
        .value_kind:     hidden_global_offset_x
      - .offset:         72
        .size:           8
        .value_kind:     hidden_global_offset_y
      - .offset:         80
        .size:           8
        .value_kind:     hidden_global_offset_z
      - .offset:         88
        .size:           2
        .value_kind:     hidden_grid_dims
    .group_segment_fixed_size: 0
    .kernarg_segment_align: 8
    .kernarg_segment_size: 280
    .language:       OpenCL C
    .language_version:
      - 2
      - 0
    .max_flat_workgroup_size: 1024
    .name:           _ZN9rocsolver6v33100L7set_tauI19rocblas_complex_numIfEEEviPT_l
    .private_segment_fixed_size: 0
    .sgpr_count:     12
    .sgpr_spill_count: 0
    .symbol:         _ZN9rocsolver6v33100L7set_tauI19rocblas_complex_numIfEEEviPT_l.kd
    .uniform_work_group_size: 1
    .uses_dynamic_stack: false
    .vgpr_count:     4
    .vgpr_spill_count: 0
    .wavefront_size: 64
  - .args:
      - .offset:         0
        .size:           4
        .value_kind:     by_value
      - .offset:         4
        .size:           4
        .value_kind:     by_value
      - .offset:         8
        .size:           4
        .value_kind:     by_value
      - .address_space:  global
        .offset:         16
        .size:           8
        .value_kind:     global_buffer
      - .offset:         24
        .size:           4
        .value_kind:     by_value
      - .offset:         28
        .size:           4
        .value_kind:     by_value
      - .offset:         32
        .size:           8
        .value_kind:     by_value
      - .address_space:  global
        .offset:         40
        .size:           8
        .value_kind:     global_buffer
      - .offset:         48
        .size:           8
        .value_kind:     by_value
      - .address_space:  global
        .offset:         56
        .size:           8
        .value_kind:     global_buffer
      - .offset:         64
        .size:           4
        .value_kind:     by_value
      - .offset:         72
        .size:           8
        .value_kind:     by_value
      - .offset:         80
        .size:           4
        .value_kind:     hidden_block_count_x
      - .offset:         84
        .size:           4
        .value_kind:     hidden_block_count_y
      - .offset:         88
        .size:           4
        .value_kind:     hidden_block_count_z
      - .offset:         92
        .size:           2
        .value_kind:     hidden_group_size_x
      - .offset:         94
        .size:           2
        .value_kind:     hidden_group_size_y
      - .offset:         96
        .size:           2
        .value_kind:     hidden_group_size_z
      - .offset:         98
        .size:           2
        .value_kind:     hidden_remainder_x
      - .offset:         100
        .size:           2
        .value_kind:     hidden_remainder_y
      - .offset:         102
        .size:           2
        .value_kind:     hidden_remainder_z
      - .offset:         120
        .size:           8
        .value_kind:     hidden_global_offset_x
      - .offset:         128
        .size:           8
        .value_kind:     hidden_global_offset_y
      - .offset:         136
        .size:           8
        .value_kind:     hidden_global_offset_z
      - .offset:         144
        .size:           2
        .value_kind:     hidden_grid_dims
      - .offset:         200
        .size:           4
        .value_kind:     hidden_dynamic_lds_size
    .group_segment_fixed_size: 0
    .kernarg_segment_align: 8
    .kernarg_segment_size: 336
    .language:       OpenCL C
    .language_version:
      - 2
      - 0
    .max_flat_workgroup_size: 1024
    .name:           _ZN9rocsolver6v33100L20larft_kernel_forwardI19rocblas_complex_numIfEPKPS3_EEv15rocblas_storev_iiT0_iilPT_lSA_il
    .private_segment_fixed_size: 0
    .sgpr_count:     54
    .sgpr_spill_count: 0
    .symbol:         _ZN9rocsolver6v33100L20larft_kernel_forwardI19rocblas_complex_numIfEPKPS3_EEv15rocblas_storev_iiT0_iilPT_lSA_il.kd
    .uniform_work_group_size: 1
    .uses_dynamic_stack: false
    .vgpr_count:     21
    .vgpr_spill_count: 0
    .wavefront_size: 64
  - .args:
      - .offset:         0
        .size:           4
        .value_kind:     by_value
      - .offset:         4
        .size:           4
        .value_kind:     by_value
      - .offset:         8
        .size:           4
        .value_kind:     by_value
      - .address_space:  global
        .offset:         16
        .size:           8
        .value_kind:     global_buffer
      - .offset:         24
        .size:           4
        .value_kind:     by_value
      - .offset:         28
        .size:           4
        .value_kind:     by_value
      - .offset:         32
        .size:           8
        .value_kind:     by_value
      - .address_space:  global
        .offset:         40
        .size:           8
        .value_kind:     global_buffer
      - .offset:         48
        .size:           8
        .value_kind:     by_value
      - .address_space:  global
        .offset:         56
        .size:           8
        .value_kind:     global_buffer
      - .offset:         64
        .size:           4
        .value_kind:     by_value
      - .offset:         72
        .size:           8
        .value_kind:     by_value
      - .offset:         80
        .size:           4
        .value_kind:     hidden_block_count_x
      - .offset:         84
        .size:           4
        .value_kind:     hidden_block_count_y
      - .offset:         88
        .size:           4
        .value_kind:     hidden_block_count_z
      - .offset:         92
        .size:           2
        .value_kind:     hidden_group_size_x
      - .offset:         94
        .size:           2
        .value_kind:     hidden_group_size_y
      - .offset:         96
        .size:           2
        .value_kind:     hidden_group_size_z
      - .offset:         98
        .size:           2
        .value_kind:     hidden_remainder_x
      - .offset:         100
        .size:           2
        .value_kind:     hidden_remainder_y
      - .offset:         102
        .size:           2
        .value_kind:     hidden_remainder_z
      - .offset:         120
        .size:           8
        .value_kind:     hidden_global_offset_x
      - .offset:         128
        .size:           8
        .value_kind:     hidden_global_offset_y
      - .offset:         136
        .size:           8
        .value_kind:     hidden_global_offset_z
      - .offset:         144
        .size:           2
        .value_kind:     hidden_grid_dims
      - .offset:         200
        .size:           4
        .value_kind:     hidden_dynamic_lds_size
    .group_segment_fixed_size: 0
    .kernarg_segment_align: 8
    .kernarg_segment_size: 336
    .language:       OpenCL C
    .language_version:
      - 2
      - 0
    .max_flat_workgroup_size: 1024
    .name:           _ZN9rocsolver6v33100L21larft_kernel_backwardI19rocblas_complex_numIfEPKPS3_EEv15rocblas_storev_iiT0_iilPT_lSA_il
    .private_segment_fixed_size: 0
    .sgpr_count:     52
    .sgpr_spill_count: 0
    .symbol:         _ZN9rocsolver6v33100L21larft_kernel_backwardI19rocblas_complex_numIfEPKPS3_EEv15rocblas_storev_iiT0_iilPT_lSA_il.kd
    .uniform_work_group_size: 1
    .uses_dynamic_stack: false
    .vgpr_count:     19
    .vgpr_spill_count: 0
    .wavefront_size: 64
  - .args:
      - .offset:         0
        .size:           4
        .value_kind:     by_value
      - .offset:         4
        .size:           4
        .value_kind:     by_value
      - .address_space:  global
        .offset:         8
        .size:           8
        .value_kind:     global_buffer
      - .offset:         16
        .size:           4
        .value_kind:     by_value
      - .offset:         20
        .size:           4
        .value_kind:     by_value
      - .offset:         24
        .size:           8
        .value_kind:     by_value
      - .address_space:  global
        .offset:         32
        .size:           8
        .value_kind:     global_buffer
      - .offset:         40
        .size:           4
        .value_kind:     hidden_block_count_x
      - .offset:         44
        .size:           4
        .value_kind:     hidden_block_count_y
      - .offset:         48
        .size:           4
        .value_kind:     hidden_block_count_z
      - .offset:         52
        .size:           2
        .value_kind:     hidden_group_size_x
      - .offset:         54
        .size:           2
        .value_kind:     hidden_group_size_y
      - .offset:         56
        .size:           2
        .value_kind:     hidden_group_size_z
      - .offset:         58
        .size:           2
        .value_kind:     hidden_remainder_x
      - .offset:         60
        .size:           2
        .value_kind:     hidden_remainder_y
      - .offset:         62
        .size:           2
        .value_kind:     hidden_remainder_z
      - .offset:         80
        .size:           8
        .value_kind:     hidden_global_offset_x
      - .offset:         88
        .size:           8
        .value_kind:     hidden_global_offset_y
      - .offset:         96
        .size:           8
        .value_kind:     hidden_global_offset_z
      - .offset:         104
        .size:           2
        .value_kind:     hidden_grid_dims
    .group_segment_fixed_size: 0
    .kernarg_segment_align: 8
    .kernarg_segment_size: 296
    .language:       OpenCL C
    .language_version:
      - 2
      - 0
    .max_flat_workgroup_size: 1024
    .name:           _ZN9rocsolver6v33100L9copymatA1I19rocblas_complex_numIfEPKPS3_EEviiT0_iilPT_
    .private_segment_fixed_size: 0
    .sgpr_count:     20
    .sgpr_spill_count: 0
    .symbol:         _ZN9rocsolver6v33100L9copymatA1I19rocblas_complex_numIfEPKPS3_EEviiT0_iilPT_.kd
    .uniform_work_group_size: 1
    .uses_dynamic_stack: false
    .vgpr_count:     7
    .vgpr_spill_count: 0
    .wavefront_size: 64
  - .args:
      - .offset:         0
        .size:           4
        .value_kind:     by_value
      - .offset:         4
        .size:           4
        .value_kind:     by_value
      - .address_space:  global
        .offset:         8
        .size:           8
        .value_kind:     global_buffer
      - .offset:         16
        .size:           4
        .value_kind:     by_value
      - .offset:         20
        .size:           4
        .value_kind:     by_value
      - .offset:         24
        .size:           8
        .value_kind:     by_value
      - .address_space:  global
        .offset:         32
        .size:           8
        .value_kind:     global_buffer
      - .offset:         40
        .size:           4
        .value_kind:     hidden_block_count_x
      - .offset:         44
        .size:           4
        .value_kind:     hidden_block_count_y
      - .offset:         48
        .size:           4
        .value_kind:     hidden_block_count_z
      - .offset:         52
        .size:           2
        .value_kind:     hidden_group_size_x
      - .offset:         54
        .size:           2
        .value_kind:     hidden_group_size_y
      - .offset:         56
        .size:           2
        .value_kind:     hidden_group_size_z
      - .offset:         58
        .size:           2
        .value_kind:     hidden_remainder_x
      - .offset:         60
        .size:           2
        .value_kind:     hidden_remainder_y
      - .offset:         62
        .size:           2
        .value_kind:     hidden_remainder_z
      - .offset:         80
        .size:           8
        .value_kind:     hidden_global_offset_x
      - .offset:         88
        .size:           8
        .value_kind:     hidden_global_offset_y
      - .offset:         96
        .size:           8
        .value_kind:     hidden_global_offset_z
      - .offset:         104
        .size:           2
        .value_kind:     hidden_grid_dims
    .group_segment_fixed_size: 0
    .kernarg_segment_align: 8
    .kernarg_segment_size: 296
    .language:       OpenCL C
    .language_version:
      - 2
      - 0
    .max_flat_workgroup_size: 1024
    .name:           _ZN9rocsolver6v33100L8addmatA1I19rocblas_complex_numIfEPKPS3_EEviiT0_iilPT_
    .private_segment_fixed_size: 0
    .sgpr_count:     18
    .sgpr_spill_count: 0
    .symbol:         _ZN9rocsolver6v33100L8addmatA1I19rocblas_complex_numIfEPKPS3_EEviiT0_iilPT_.kd
    .uniform_work_group_size: 1
    .uses_dynamic_stack: false
    .vgpr_count:     8
    .vgpr_spill_count: 0
    .wavefront_size: 64
  - .args:
      - .address_space:  global
        .offset:         0
        .size:           8
        .value_kind:     global_buffer
      - .offset:         8
        .size:           4
        .value_kind:     by_value
      - .offset:         16
        .size:           16
        .value_kind:     by_value
    .group_segment_fixed_size: 0
    .kernarg_segment_align: 8
    .kernarg_segment_size: 32
    .language:       OpenCL C
    .language_version:
      - 2
      - 0
    .max_flat_workgroup_size: 32
    .name:           _ZN9rocsolver6v33100L6iota_nI19rocblas_complex_numIdEEEvPT_jS4_
    .private_segment_fixed_size: 0
    .sgpr_count:     10
    .sgpr_spill_count: 0
    .symbol:         _ZN9rocsolver6v33100L6iota_nI19rocblas_complex_numIdEEEvPT_jS4_.kd
    .uniform_work_group_size: 1
    .uses_dynamic_stack: false
    .vgpr_count:     5
    .vgpr_spill_count: 0
    .wavefront_size: 64
  - .args:
      - .offset:         0
        .size:           4
        .value_kind:     by_value
      - .offset:         4
        .size:           4
        .value_kind:     by_value
      - .address_space:  global
        .offset:         8
        .size:           8
        .value_kind:     global_buffer
      - .offset:         16
        .size:           8
        .value_kind:     by_value
      - .offset:         24
        .size:           4
        .value_kind:     by_value
      - .offset:         32
        .size:           8
        .value_kind:     by_value
      - .offset:         40
        .size:           4
        .value_kind:     hidden_block_count_x
      - .offset:         44
        .size:           4
        .value_kind:     hidden_block_count_y
      - .offset:         48
        .size:           4
        .value_kind:     hidden_block_count_z
      - .offset:         52
        .size:           2
        .value_kind:     hidden_group_size_x
      - .offset:         54
        .size:           2
        .value_kind:     hidden_group_size_y
      - .offset:         56
        .size:           2
        .value_kind:     hidden_group_size_z
      - .offset:         58
        .size:           2
        .value_kind:     hidden_remainder_x
      - .offset:         60
        .size:           2
        .value_kind:     hidden_remainder_y
      - .offset:         62
        .size:           2
        .value_kind:     hidden_remainder_z
      - .offset:         80
        .size:           8
        .value_kind:     hidden_global_offset_x
      - .offset:         88
        .size:           8
        .value_kind:     hidden_global_offset_y
      - .offset:         96
        .size:           8
        .value_kind:     hidden_global_offset_z
      - .offset:         104
        .size:           2
        .value_kind:     hidden_grid_dims
    .group_segment_fixed_size: 0
    .kernarg_segment_align: 8
    .kernarg_segment_size: 296
    .language:       OpenCL C
    .language_version:
      - 2
      - 0
    .max_flat_workgroup_size: 1024
    .name:           _ZN9rocsolver6v33100L13conj_in_placeI19rocblas_complex_numIdEiPKPS3_TnNSt9enable_ifIX18rocblas_is_complexIT_EEiE4typeELi0EEEvT0_SB_T1_lSB_l
    .private_segment_fixed_size: 0
    .sgpr_count:     14
    .sgpr_spill_count: 0
    .symbol:         _ZN9rocsolver6v33100L13conj_in_placeI19rocblas_complex_numIdEiPKPS3_TnNSt9enable_ifIX18rocblas_is_complexIT_EEiE4typeELi0EEEvT0_SB_T1_lSB_l.kd
    .uniform_work_group_size: 1
    .uses_dynamic_stack: false
    .vgpr_count:     7
    .vgpr_spill_count: 0
    .wavefront_size: 64
  - .args:
      - .address_space:  global
        .offset:         0
        .size:           8
        .value_kind:     global_buffer
      - .offset:         8
        .size:           8
        .value_kind:     by_value
      - .offset:         16
        .size:           4
        .value_kind:     by_value
      - .offset:         20
        .size:           4
        .value_kind:     by_value
      - .offset:         24
        .size:           4
        .value_kind:     hidden_block_count_x
      - .offset:         28
        .size:           4
        .value_kind:     hidden_block_count_y
      - .offset:         32
        .size:           4
        .value_kind:     hidden_block_count_z
      - .offset:         36
        .size:           2
        .value_kind:     hidden_group_size_x
      - .offset:         38
        .size:           2
        .value_kind:     hidden_group_size_y
      - .offset:         40
        .size:           2
        .value_kind:     hidden_group_size_z
      - .offset:         42
        .size:           2
        .value_kind:     hidden_remainder_x
      - .offset:         44
        .size:           2
        .value_kind:     hidden_remainder_y
      - .offset:         46
        .size:           2
        .value_kind:     hidden_remainder_z
      - .offset:         64
        .size:           8
        .value_kind:     hidden_global_offset_x
      - .offset:         72
        .size:           8
        .value_kind:     hidden_global_offset_y
      - .offset:         80
        .size:           8
        .value_kind:     hidden_global_offset_z
      - .offset:         88
        .size:           2
        .value_kind:     hidden_grid_dims
    .group_segment_fixed_size: 0
    .kernarg_segment_align: 8
    .kernarg_segment_size: 280
    .language:       OpenCL C
    .language_version:
      - 2
      - 0
    .max_flat_workgroup_size: 1024
    .name:           _ZN9rocsolver6v33100L16reset_batch_infoI19rocblas_complex_numIdEiiPS3_EEvT2_lT0_T1_
    .private_segment_fixed_size: 0
    .sgpr_count:     16
    .sgpr_spill_count: 0
    .symbol:         _ZN9rocsolver6v33100L16reset_batch_infoI19rocblas_complex_numIdEiiPS3_EEvT2_lT0_T1_.kd
    .uniform_work_group_size: 1
    .uses_dynamic_stack: false
    .vgpr_count:     6
    .vgpr_spill_count: 0
    .wavefront_size: 64
  - .args:
      - .address_space:  global
        .offset:         0
        .size:           8
        .value_kind:     global_buffer
      - .offset:         8
        .size:           8
        .value_kind:     by_value
      - .offset:         16
        .size:           8
        .value_kind:     by_value
      - .address_space:  global
        .offset:         24
        .size:           8
        .value_kind:     global_buffer
      - .offset:         32
        .size:           8
        .value_kind:     by_value
      - .offset:         40
        .size:           4
        .value_kind:     by_value
      - .offset:         48
        .size:           8
        .value_kind:     by_value
      - .offset:         56
        .size:           4
        .value_kind:     by_value
      - .offset:         60
        .size:           1
        .value_kind:     by_value
      - .offset:         64
        .size:           4
        .value_kind:     hidden_block_count_x
      - .offset:         68
        .size:           4
        .value_kind:     hidden_block_count_y
      - .offset:         72
        .size:           4
        .value_kind:     hidden_block_count_z
      - .offset:         76
        .size:           2
        .value_kind:     hidden_group_size_x
      - .offset:         78
        .size:           2
        .value_kind:     hidden_group_size_y
      - .offset:         80
        .size:           2
        .value_kind:     hidden_group_size_z
      - .offset:         82
        .size:           2
        .value_kind:     hidden_remainder_x
      - .offset:         84
        .size:           2
        .value_kind:     hidden_remainder_y
      - .offset:         86
        .size:           2
        .value_kind:     hidden_remainder_z
      - .offset:         104
        .size:           8
        .value_kind:     hidden_global_offset_x
      - .offset:         112
        .size:           8
        .value_kind:     hidden_global_offset_y
      - .offset:         120
        .size:           8
        .value_kind:     hidden_global_offset_z
      - .offset:         128
        .size:           2
        .value_kind:     hidden_grid_dims
    .group_segment_fixed_size: 0
    .kernarg_segment_align: 8
    .kernarg_segment_size: 320
    .language:       OpenCL C
    .language_version:
      - 2
      - 0
    .max_flat_workgroup_size: 1024
    .name:           _ZN9rocsolver6v33100L8set_diagI19rocblas_complex_numIdEidPKPS3_TnNSt9enable_ifIXaa18rocblas_is_complexIT_Ent18rocblas_is_complexIT1_EEiE4typeELi0EEEvPS9_llT2_lT0_lSE_b
    .private_segment_fixed_size: 0
    .sgpr_count:     21
    .sgpr_spill_count: 0
    .symbol:         _ZN9rocsolver6v33100L8set_diagI19rocblas_complex_numIdEidPKPS3_TnNSt9enable_ifIXaa18rocblas_is_complexIT_Ent18rocblas_is_complexIT1_EEiE4typeELi0EEEvPS9_llT2_lT0_lSE_b.kd
    .uniform_work_group_size: 1
    .uses_dynamic_stack: false
    .vgpr_count:     7
    .vgpr_spill_count: 0
    .wavefront_size: 64
  - .args:
      - .address_space:  global
        .offset:         0
        .size:           8
        .value_kind:     global_buffer
      - .offset:         8
        .size:           8
        .value_kind:     by_value
      - .address_space:  global
        .offset:         16
        .size:           8
        .value_kind:     global_buffer
      - .address_space:  global
        .offset:         24
        .size:           8
        .value_kind:     global_buffer
      - .offset:         32
        .size:           8
        .value_kind:     by_value
      - .offset:         40
        .size:           8
        .value_kind:     by_value
      - .address_space:  global
        .offset:         48
        .size:           8
        .value_kind:     global_buffer
      - .offset:         56
        .size:           8
        .value_kind:     by_value
      - .offset:         64
        .size:           8
        .value_kind:     by_value
    .group_segment_fixed_size: 0
    .kernarg_segment_align: 8
    .kernarg_segment_size: 72
    .language:       OpenCL C
    .language_version:
      - 2
      - 0
    .max_flat_workgroup_size: 1024
    .name:           _ZN9rocsolver6v33100L11set_taubetaI19rocblas_complex_numIdEidPKPS3_EEvPT_lS8_T2_llPT1_ll
    .private_segment_fixed_size: 0
    .sgpr_count:     26
    .sgpr_spill_count: 0
    .symbol:         _ZN9rocsolver6v33100L11set_taubetaI19rocblas_complex_numIdEidPKPS3_EEvPT_lS8_T2_llPT1_ll.kd
    .uniform_work_group_size: 1
    .uses_dynamic_stack: false
    .vgpr_count:     24
    .vgpr_spill_count: 0
    .wavefront_size: 64
  - .args:
      - .address_space:  global
        .offset:         0
        .size:           8
        .value_kind:     global_buffer
      - .offset:         8
        .size:           8
        .value_kind:     by_value
      - .offset:         16
        .size:           8
        .value_kind:     by_value
      - .address_space:  global
        .offset:         24
        .size:           8
        .value_kind:     global_buffer
      - .offset:         32
        .size:           8
        .value_kind:     by_value
      - .offset:         40
        .size:           4
        .value_kind:     by_value
      - .offset:         48
        .size:           8
        .value_kind:     by_value
      - .offset:         56
        .size:           4
        .value_kind:     by_value
      - .offset:         60
        .size:           1
        .value_kind:     by_value
      - .offset:         64
        .size:           4
        .value_kind:     hidden_block_count_x
      - .offset:         68
        .size:           4
        .value_kind:     hidden_block_count_y
      - .offset:         72
        .size:           4
        .value_kind:     hidden_block_count_z
      - .offset:         76
        .size:           2
        .value_kind:     hidden_group_size_x
      - .offset:         78
        .size:           2
        .value_kind:     hidden_group_size_y
      - .offset:         80
        .size:           2
        .value_kind:     hidden_group_size_z
      - .offset:         82
        .size:           2
        .value_kind:     hidden_remainder_x
      - .offset:         84
        .size:           2
        .value_kind:     hidden_remainder_y
      - .offset:         86
        .size:           2
        .value_kind:     hidden_remainder_z
      - .offset:         104
        .size:           8
        .value_kind:     hidden_global_offset_x
      - .offset:         112
        .size:           8
        .value_kind:     hidden_global_offset_y
      - .offset:         120
        .size:           8
        .value_kind:     hidden_global_offset_z
      - .offset:         128
        .size:           2
        .value_kind:     hidden_grid_dims
    .group_segment_fixed_size: 0
    .kernarg_segment_align: 8
    .kernarg_segment_size: 320
    .language:       OpenCL C
    .language_version:
      - 2
      - 0
    .max_flat_workgroup_size: 1024
    .name:           _ZN9rocsolver6v33100L8set_diagI19rocblas_complex_numIdEiS3_PKPS3_TnNSt9enable_ifIXoont18rocblas_is_complexIT_E18rocblas_is_complexIT1_EEiE4typeELi0EEEvPS9_llT2_lT0_lSE_b
    .private_segment_fixed_size: 0
    .sgpr_count:     21
    .sgpr_spill_count: 0
    .symbol:         _ZN9rocsolver6v33100L8set_diagI19rocblas_complex_numIdEiS3_PKPS3_TnNSt9enable_ifIXoont18rocblas_is_complexIT_E18rocblas_is_complexIT1_EEiE4typeELi0EEEvPS9_llT2_lT0_lSE_b.kd
    .uniform_work_group_size: 1
    .uses_dynamic_stack: false
    .vgpr_count:     10
    .vgpr_spill_count: 0
    .wavefront_size: 64
  - .args:
      - .offset:         0
        .size:           4
        .value_kind:     by_value
      - .offset:         4
        .size:           4
        .value_kind:     by_value
      - .address_space:  global
        .offset:         8
        .size:           8
        .value_kind:     global_buffer
      - .offset:         16
        .size:           8
        .value_kind:     by_value
      - .offset:         24
        .size:           4
        .value_kind:     by_value
      - .offset:         32
        .size:           8
        .value_kind:     by_value
      - .address_space:  global
        .offset:         40
        .size:           8
        .value_kind:     global_buffer
      - .offset:         48
        .size:           8
        .value_kind:     by_value
      - .address_space:  global
        .offset:         56
        .size:           8
        .value_kind:     global_buffer
      - .offset:         64
        .size:           8
        .value_kind:     by_value
      - .offset:         72
        .size:           4
        .value_kind:     by_value
      - .offset:         80
        .size:           8
        .value_kind:     by_value
    .group_segment_fixed_size: 0
    .kernarg_segment_align: 8
    .kernarg_segment_size: 88
    .language:       OpenCL C
    .language_version:
      - 2
      - 0
    .max_flat_workgroup_size: 1024
    .name:           _ZN9rocsolver6v33100L16larf_left_kernelILi1024E19rocblas_complex_numIdEiPKPS3_EEvT1_S7_T2_lS7_lPKT0_lS8_lS7_l
    .private_segment_fixed_size: 0
    .sgpr_count:     34
    .sgpr_spill_count: 0
    .symbol:         _ZN9rocsolver6v33100L16larf_left_kernelILi1024E19rocblas_complex_numIdEiPKPS3_EEvT1_S7_T2_lS7_lPKT0_lS8_lS7_l.kd
    .uniform_work_group_size: 1
    .uses_dynamic_stack: false
    .vgpr_count:     19
    .vgpr_spill_count: 0
    .wavefront_size: 64
  - .args:
      - .offset:         0
        .size:           4
        .value_kind:     by_value
      - .offset:         4
        .size:           4
        .value_kind:     by_value
      - .address_space:  global
        .offset:         8
        .size:           8
        .value_kind:     global_buffer
      - .offset:         16
        .size:           8
        .value_kind:     by_value
      - .offset:         24
        .size:           4
        .value_kind:     by_value
      - .offset:         32
        .size:           8
        .value_kind:     by_value
      - .address_space:  global
        .offset:         40
        .size:           8
        .value_kind:     global_buffer
      - .offset:         48
        .size:           8
        .value_kind:     by_value
      - .address_space:  global
        .offset:         56
        .size:           8
        .value_kind:     global_buffer
      - .offset:         64
        .size:           8
        .value_kind:     by_value
      - .offset:         72
        .size:           4
        .value_kind:     by_value
      - .offset:         80
        .size:           8
        .value_kind:     by_value
    .group_segment_fixed_size: 0
    .kernarg_segment_align: 8
    .kernarg_segment_size: 88
    .language:       OpenCL C
    .language_version:
      - 2
      - 0
    .max_flat_workgroup_size: 1024
    .name:           _ZN9rocsolver6v33100L17larf_right_kernelILi1024E19rocblas_complex_numIdEiPKPS3_EEvT1_S7_T2_lS7_lPKT0_lS8_lS7_l
    .private_segment_fixed_size: 0
    .sgpr_count:     36
    .sgpr_spill_count: 0
    .symbol:         _ZN9rocsolver6v33100L17larf_right_kernelILi1024E19rocblas_complex_numIdEiPKPS3_EEvT1_S7_T2_lS7_lPKT0_lS8_lS7_l.kd
    .uniform_work_group_size: 1
    .uses_dynamic_stack: false
    .vgpr_count:     21
    .vgpr_spill_count: 0
    .wavefront_size: 64
  - .args:
      - .address_space:  global
        .offset:         0
        .size:           8
        .value_kind:     global_buffer
      - .address_space:  global
        .offset:         8
        .size:           8
        .value_kind:     global_buffer
      - .offset:         16
        .size:           8
        .value_kind:     by_value
      - .offset:         24
        .size:           4
        .value_kind:     by_value
      - .offset:         32
        .size:           4
        .value_kind:     hidden_block_count_x
      - .offset:         36
        .size:           4
        .value_kind:     hidden_block_count_y
      - .offset:         40
        .size:           4
        .value_kind:     hidden_block_count_z
      - .offset:         44
        .size:           2
        .value_kind:     hidden_group_size_x
      - .offset:         46
        .size:           2
        .value_kind:     hidden_group_size_y
      - .offset:         48
        .size:           2
        .value_kind:     hidden_group_size_z
      - .offset:         50
        .size:           2
        .value_kind:     hidden_remainder_x
      - .offset:         52
        .size:           2
        .value_kind:     hidden_remainder_y
      - .offset:         54
        .size:           2
        .value_kind:     hidden_remainder_z
      - .offset:         72
        .size:           8
        .value_kind:     hidden_global_offset_x
      - .offset:         80
        .size:           8
        .value_kind:     hidden_global_offset_y
      - .offset:         88
        .size:           8
        .value_kind:     hidden_global_offset_z
      - .offset:         96
        .size:           2
        .value_kind:     hidden_grid_dims
    .group_segment_fixed_size: 0
    .kernarg_segment_align: 8
    .kernarg_segment_size: 288
    .language:       OpenCL C
    .language_version:
      - 2
      - 0
    .max_flat_workgroup_size: 1024
    .name:           _ZN9rocsolver6v33100L9get_arrayI19rocblas_complex_numIdEiEEvPPT_S5_lT0_
    .private_segment_fixed_size: 0
    .sgpr_count:     12
    .sgpr_spill_count: 0
    .symbol:         _ZN9rocsolver6v33100L9get_arrayI19rocblas_complex_numIdEiEEvPPT_S5_lT0_.kd
    .uniform_work_group_size: 1
    .uses_dynamic_stack: false
    .vgpr_count:     7
    .vgpr_spill_count: 0
    .wavefront_size: 64
  - .args:
      - .address_space:  global
        .offset:         0
        .size:           8
        .value_kind:     global_buffer
      - .offset:         8
        .size:           8
        .value_kind:     by_value
      - .offset:         16
        .size:           8
        .value_kind:     by_value
      - .address_space:  global
        .offset:         24
        .size:           8
        .value_kind:     global_buffer
      - .offset:         32
        .size:           8
        .value_kind:     by_value
      - .offset:         40
        .size:           4
        .value_kind:     by_value
      - .offset:         48
        .size:           8
        .value_kind:     by_value
      - .offset:         56
        .size:           4
        .value_kind:     by_value
      - .offset:         64
        .size:           4
        .value_kind:     hidden_block_count_x
      - .offset:         68
        .size:           4
        .value_kind:     hidden_block_count_y
      - .offset:         72
        .size:           4
        .value_kind:     hidden_block_count_z
      - .offset:         76
        .size:           2
        .value_kind:     hidden_group_size_x
      - .offset:         78
        .size:           2
        .value_kind:     hidden_group_size_y
      - .offset:         80
        .size:           2
        .value_kind:     hidden_group_size_z
      - .offset:         82
        .size:           2
        .value_kind:     hidden_remainder_x
      - .offset:         84
        .size:           2
        .value_kind:     hidden_remainder_y
      - .offset:         86
        .size:           2
        .value_kind:     hidden_remainder_z
      - .offset:         104
        .size:           8
        .value_kind:     hidden_global_offset_x
      - .offset:         112
        .size:           8
        .value_kind:     hidden_global_offset_y
      - .offset:         120
        .size:           8
        .value_kind:     hidden_global_offset_z
      - .offset:         128
        .size:           2
        .value_kind:     hidden_grid_dims
    .group_segment_fixed_size: 0
    .kernarg_segment_align: 8
    .kernarg_segment_size: 320
    .language:       OpenCL C
    .language_version:
      - 2
      - 0
    .max_flat_workgroup_size: 1024
    .name:           _ZN9rocsolver6v33100L12restore_diagI19rocblas_complex_numIdEiS3_PKPS3_EEvPT1_llT2_lT0_lSA_
    .private_segment_fixed_size: 0
    .sgpr_count:     21
    .sgpr_spill_count: 0
    .symbol:         _ZN9rocsolver6v33100L12restore_diagI19rocblas_complex_numIdEiS3_PKPS3_EEvPT1_llT2_lT0_lSA_.kd
    .uniform_work_group_size: 1
    .uses_dynamic_stack: false
    .vgpr_count:     7
    .vgpr_spill_count: 0
    .wavefront_size: 64
  - .args:
      - .offset:         0
        .size:           4
        .value_kind:     by_value
      - .offset:         4
        .size:           4
        .value_kind:     by_value
      - .address_space:  global
        .offset:         8
        .size:           8
        .value_kind:     global_buffer
      - .offset:         16
        .size:           4
        .value_kind:     by_value
      - .offset:         20
        .size:           4
        .value_kind:     by_value
      - .offset:         24
        .size:           8
        .value_kind:     by_value
      - .address_space:  global
        .offset:         32
        .size:           8
        .value_kind:     global_buffer
      - .offset:         40
        .size:           8
        .value_kind:     by_value
      - .address_space:  global
        .offset:         48
        .size:           8
        .value_kind:     global_buffer
      - .offset:         56
        .size:           4
        .value_kind:     by_value
      - .offset:         64
        .size:           8
        .value_kind:     by_value
      - .offset:         72
        .size:           4
        .value_kind:     by_value
      - .offset:         76
        .size:           4
        .value_kind:     by_value
      - .offset:         80
        .size:           1
        .value_kind:     by_value
      - .offset:         88
        .size:           4
        .value_kind:     hidden_block_count_x
      - .offset:         92
        .size:           4
        .value_kind:     hidden_block_count_y
      - .offset:         96
        .size:           4
        .value_kind:     hidden_block_count_z
      - .offset:         100
        .size:           2
        .value_kind:     hidden_group_size_x
      - .offset:         102
        .size:           2
        .value_kind:     hidden_group_size_y
      - .offset:         104
        .size:           2
        .value_kind:     hidden_group_size_z
      - .offset:         106
        .size:           2
        .value_kind:     hidden_remainder_x
      - .offset:         108
        .size:           2
        .value_kind:     hidden_remainder_y
      - .offset:         110
        .size:           2
        .value_kind:     hidden_remainder_z
      - .offset:         128
        .size:           8
        .value_kind:     hidden_global_offset_x
      - .offset:         136
        .size:           8
        .value_kind:     hidden_global_offset_y
      - .offset:         144
        .size:           8
        .value_kind:     hidden_global_offset_z
      - .offset:         152
        .size:           2
        .value_kind:     hidden_grid_dims
    .group_segment_fixed_size: 0
    .kernarg_segment_align: 8
    .kernarg_segment_size: 344
    .language:       OpenCL C
    .language_version:
      - 2
      - 0
    .max_flat_workgroup_size: 1024
    .name:           _ZN9rocsolver6v33100L14set_triangularI19rocblas_complex_numIdEPKPS3_TnNSt9enable_ifIX18rocblas_is_complexIT_EEiE4typeELi0EEEviiT0_iilPS8_lSC_il15rocblas_direct_15rocblas_storev_b
    .private_segment_fixed_size: 0
    .sgpr_count:     25
    .sgpr_spill_count: 0
    .symbol:         _ZN9rocsolver6v33100L14set_triangularI19rocblas_complex_numIdEPKPS3_TnNSt9enable_ifIX18rocblas_is_complexIT_EEiE4typeELi0EEEviiT0_iilPS8_lSC_il15rocblas_direct_15rocblas_storev_b.kd
    .uniform_work_group_size: 1
    .uses_dynamic_stack: false
    .vgpr_count:     21
    .vgpr_spill_count: 0
    .wavefront_size: 64
  - .args:
      - .offset:         0
        .size:           4
        .value_kind:     by_value
      - .address_space:  global
        .offset:         8
        .size:           8
        .value_kind:     global_buffer
      - .offset:         16
        .size:           8
        .value_kind:     by_value
      - .offset:         24
        .size:           4
        .value_kind:     hidden_block_count_x
      - .offset:         28
        .size:           4
        .value_kind:     hidden_block_count_y
      - .offset:         32
        .size:           4
        .value_kind:     hidden_block_count_z
      - .offset:         36
        .size:           2
        .value_kind:     hidden_group_size_x
      - .offset:         38
        .size:           2
        .value_kind:     hidden_group_size_y
      - .offset:         40
        .size:           2
        .value_kind:     hidden_group_size_z
      - .offset:         42
        .size:           2
        .value_kind:     hidden_remainder_x
      - .offset:         44
        .size:           2
        .value_kind:     hidden_remainder_y
      - .offset:         46
        .size:           2
        .value_kind:     hidden_remainder_z
      - .offset:         64
        .size:           8
        .value_kind:     hidden_global_offset_x
      - .offset:         72
        .size:           8
        .value_kind:     hidden_global_offset_y
      - .offset:         80
        .size:           8
        .value_kind:     hidden_global_offset_z
      - .offset:         88
        .size:           2
        .value_kind:     hidden_grid_dims
    .group_segment_fixed_size: 0
    .kernarg_segment_align: 8
    .kernarg_segment_size: 280
    .language:       OpenCL C
    .language_version:
      - 2
      - 0
    .max_flat_workgroup_size: 1024
    .name:           _ZN9rocsolver6v33100L7set_tauI19rocblas_complex_numIdEEEviPT_l
    .private_segment_fixed_size: 0
    .sgpr_count:     12
    .sgpr_spill_count: 0
    .symbol:         _ZN9rocsolver6v33100L7set_tauI19rocblas_complex_numIdEEEviPT_l.kd
    .uniform_work_group_size: 1
    .uses_dynamic_stack: false
    .vgpr_count:     6
    .vgpr_spill_count: 0
    .wavefront_size: 64
  - .args:
      - .offset:         0
        .size:           4
        .value_kind:     by_value
      - .offset:         4
        .size:           4
        .value_kind:     by_value
      - .offset:         8
        .size:           4
        .value_kind:     by_value
      - .address_space:  global
        .offset:         16
        .size:           8
        .value_kind:     global_buffer
      - .offset:         24
        .size:           4
        .value_kind:     by_value
      - .offset:         28
        .size:           4
        .value_kind:     by_value
      - .offset:         32
        .size:           8
        .value_kind:     by_value
      - .address_space:  global
        .offset:         40
        .size:           8
        .value_kind:     global_buffer
      - .offset:         48
        .size:           8
        .value_kind:     by_value
      - .address_space:  global
        .offset:         56
        .size:           8
        .value_kind:     global_buffer
      - .offset:         64
        .size:           4
        .value_kind:     by_value
      - .offset:         72
        .size:           8
        .value_kind:     by_value
      - .offset:         80
        .size:           4
        .value_kind:     hidden_block_count_x
      - .offset:         84
        .size:           4
        .value_kind:     hidden_block_count_y
      - .offset:         88
        .size:           4
        .value_kind:     hidden_block_count_z
      - .offset:         92
        .size:           2
        .value_kind:     hidden_group_size_x
      - .offset:         94
        .size:           2
        .value_kind:     hidden_group_size_y
      - .offset:         96
        .size:           2
        .value_kind:     hidden_group_size_z
      - .offset:         98
        .size:           2
        .value_kind:     hidden_remainder_x
      - .offset:         100
        .size:           2
        .value_kind:     hidden_remainder_y
      - .offset:         102
        .size:           2
        .value_kind:     hidden_remainder_z
      - .offset:         120
        .size:           8
        .value_kind:     hidden_global_offset_x
      - .offset:         128
        .size:           8
        .value_kind:     hidden_global_offset_y
      - .offset:         136
        .size:           8
        .value_kind:     hidden_global_offset_z
      - .offset:         144
        .size:           2
        .value_kind:     hidden_grid_dims
      - .offset:         200
        .size:           4
        .value_kind:     hidden_dynamic_lds_size
    .group_segment_fixed_size: 0
    .kernarg_segment_align: 8
    .kernarg_segment_size: 336
    .language:       OpenCL C
    .language_version:
      - 2
      - 0
    .max_flat_workgroup_size: 1024
    .name:           _ZN9rocsolver6v33100L20larft_kernel_forwardI19rocblas_complex_numIdEPKPS3_EEv15rocblas_storev_iiT0_iilPT_lSA_il
    .private_segment_fixed_size: 0
    .sgpr_count:     56
    .sgpr_spill_count: 0
    .symbol:         _ZN9rocsolver6v33100L20larft_kernel_forwardI19rocblas_complex_numIdEPKPS3_EEv15rocblas_storev_iiT0_iilPT_lSA_il.kd
    .uniform_work_group_size: 1
    .uses_dynamic_stack: false
    .vgpr_count:     26
    .vgpr_spill_count: 0
    .wavefront_size: 64
  - .args:
      - .offset:         0
        .size:           4
        .value_kind:     by_value
      - .offset:         4
        .size:           4
        .value_kind:     by_value
      - .offset:         8
        .size:           4
        .value_kind:     by_value
      - .address_space:  global
        .offset:         16
        .size:           8
        .value_kind:     global_buffer
      - .offset:         24
        .size:           4
        .value_kind:     by_value
      - .offset:         28
        .size:           4
        .value_kind:     by_value
      - .offset:         32
        .size:           8
        .value_kind:     by_value
      - .address_space:  global
        .offset:         40
        .size:           8
        .value_kind:     global_buffer
      - .offset:         48
        .size:           8
        .value_kind:     by_value
      - .address_space:  global
        .offset:         56
        .size:           8
        .value_kind:     global_buffer
      - .offset:         64
        .size:           4
        .value_kind:     by_value
      - .offset:         72
        .size:           8
        .value_kind:     by_value
      - .offset:         80
        .size:           4
        .value_kind:     hidden_block_count_x
      - .offset:         84
        .size:           4
        .value_kind:     hidden_block_count_y
      - .offset:         88
        .size:           4
        .value_kind:     hidden_block_count_z
      - .offset:         92
        .size:           2
        .value_kind:     hidden_group_size_x
      - .offset:         94
        .size:           2
        .value_kind:     hidden_group_size_y
      - .offset:         96
        .size:           2
        .value_kind:     hidden_group_size_z
      - .offset:         98
        .size:           2
        .value_kind:     hidden_remainder_x
      - .offset:         100
        .size:           2
        .value_kind:     hidden_remainder_y
      - .offset:         102
        .size:           2
        .value_kind:     hidden_remainder_z
      - .offset:         120
        .size:           8
        .value_kind:     hidden_global_offset_x
      - .offset:         128
        .size:           8
        .value_kind:     hidden_global_offset_y
      - .offset:         136
        .size:           8
        .value_kind:     hidden_global_offset_z
      - .offset:         144
        .size:           2
        .value_kind:     hidden_grid_dims
      - .offset:         200
        .size:           4
        .value_kind:     hidden_dynamic_lds_size
    .group_segment_fixed_size: 0
    .kernarg_segment_align: 8
    .kernarg_segment_size: 336
    .language:       OpenCL C
    .language_version:
      - 2
      - 0
    .max_flat_workgroup_size: 1024
    .name:           _ZN9rocsolver6v33100L21larft_kernel_backwardI19rocblas_complex_numIdEPKPS3_EEv15rocblas_storev_iiT0_iilPT_lSA_il
    .private_segment_fixed_size: 0
    .sgpr_count:     54
    .sgpr_spill_count: 0
    .symbol:         _ZN9rocsolver6v33100L21larft_kernel_backwardI19rocblas_complex_numIdEPKPS3_EEv15rocblas_storev_iiT0_iilPT_lSA_il.kd
    .uniform_work_group_size: 1
    .uses_dynamic_stack: false
    .vgpr_count:     25
    .vgpr_spill_count: 0
    .wavefront_size: 64
  - .args:
      - .offset:         0
        .size:           4
        .value_kind:     by_value
      - .offset:         4
        .size:           4
        .value_kind:     by_value
      - .address_space:  global
        .offset:         8
        .size:           8
        .value_kind:     global_buffer
      - .offset:         16
        .size:           4
        .value_kind:     by_value
      - .offset:         20
        .size:           4
        .value_kind:     by_value
      - .offset:         24
        .size:           8
        .value_kind:     by_value
      - .address_space:  global
        .offset:         32
        .size:           8
        .value_kind:     global_buffer
      - .offset:         40
        .size:           4
        .value_kind:     hidden_block_count_x
      - .offset:         44
        .size:           4
        .value_kind:     hidden_block_count_y
      - .offset:         48
        .size:           4
        .value_kind:     hidden_block_count_z
      - .offset:         52
        .size:           2
        .value_kind:     hidden_group_size_x
      - .offset:         54
        .size:           2
        .value_kind:     hidden_group_size_y
      - .offset:         56
        .size:           2
        .value_kind:     hidden_group_size_z
      - .offset:         58
        .size:           2
        .value_kind:     hidden_remainder_x
      - .offset:         60
        .size:           2
        .value_kind:     hidden_remainder_y
      - .offset:         62
        .size:           2
        .value_kind:     hidden_remainder_z
      - .offset:         80
        .size:           8
        .value_kind:     hidden_global_offset_x
      - .offset:         88
        .size:           8
        .value_kind:     hidden_global_offset_y
      - .offset:         96
        .size:           8
        .value_kind:     hidden_global_offset_z
      - .offset:         104
        .size:           2
        .value_kind:     hidden_grid_dims
    .group_segment_fixed_size: 0
    .kernarg_segment_align: 8
    .kernarg_segment_size: 296
    .language:       OpenCL C
    .language_version:
      - 2
      - 0
    .max_flat_workgroup_size: 1024
    .name:           _ZN9rocsolver6v33100L9copymatA1I19rocblas_complex_numIdEPKPS3_EEviiT0_iilPT_
    .private_segment_fixed_size: 0
    .sgpr_count:     20
    .sgpr_spill_count: 0
    .symbol:         _ZN9rocsolver6v33100L9copymatA1I19rocblas_complex_numIdEPKPS3_EEviiT0_iilPT_.kd
    .uniform_work_group_size: 1
    .uses_dynamic_stack: false
    .vgpr_count:     8
    .vgpr_spill_count: 0
    .wavefront_size: 64
  - .args:
      - .offset:         0
        .size:           4
        .value_kind:     by_value
      - .offset:         4
        .size:           4
        .value_kind:     by_value
      - .address_space:  global
        .offset:         8
        .size:           8
        .value_kind:     global_buffer
      - .offset:         16
        .size:           4
        .value_kind:     by_value
      - .offset:         20
        .size:           4
        .value_kind:     by_value
      - .offset:         24
        .size:           8
        .value_kind:     by_value
      - .address_space:  global
        .offset:         32
        .size:           8
        .value_kind:     global_buffer
      - .offset:         40
        .size:           4
        .value_kind:     hidden_block_count_x
      - .offset:         44
        .size:           4
        .value_kind:     hidden_block_count_y
      - .offset:         48
        .size:           4
        .value_kind:     hidden_block_count_z
      - .offset:         52
        .size:           2
        .value_kind:     hidden_group_size_x
      - .offset:         54
        .size:           2
        .value_kind:     hidden_group_size_y
      - .offset:         56
        .size:           2
        .value_kind:     hidden_group_size_z
      - .offset:         58
        .size:           2
        .value_kind:     hidden_remainder_x
      - .offset:         60
        .size:           2
        .value_kind:     hidden_remainder_y
      - .offset:         62
        .size:           2
        .value_kind:     hidden_remainder_z
      - .offset:         80
        .size:           8
        .value_kind:     hidden_global_offset_x
      - .offset:         88
        .size:           8
        .value_kind:     hidden_global_offset_y
      - .offset:         96
        .size:           8
        .value_kind:     hidden_global_offset_z
      - .offset:         104
        .size:           2
        .value_kind:     hidden_grid_dims
    .group_segment_fixed_size: 0
    .kernarg_segment_align: 8
    .kernarg_segment_size: 296
    .language:       OpenCL C
    .language_version:
      - 2
      - 0
    .max_flat_workgroup_size: 1024
    .name:           _ZN9rocsolver6v33100L8addmatA1I19rocblas_complex_numIdEPKPS3_EEviiT0_iilPT_
    .private_segment_fixed_size: 0
    .sgpr_count:     18
    .sgpr_spill_count: 0
    .symbol:         _ZN9rocsolver6v33100L8addmatA1I19rocblas_complex_numIdEPKPS3_EEviiT0_iilPT_.kd
    .uniform_work_group_size: 1
    .uses_dynamic_stack: false
    .vgpr_count:     12
    .vgpr_spill_count: 0
    .wavefront_size: 64
amdhsa.target:   amdgcn-amd-amdhsa--gfx906
amdhsa.version:
  - 1
  - 2
...

	.end_amdgpu_metadata
